;; amdgpu-corpus repo=ROCm/rocFFT kind=compiled arch=gfx1201 opt=O3
	.text
	.amdgcn_target "amdgcn-amd-amdhsa--gfx1201"
	.amdhsa_code_object_version 6
	.protected	fft_rtc_fwd_len2560_factors_4_4_4_10_4_wgs_128_tpt_128_halfLds_sp_ip_CI_unitstride_sbrr_R2C_dirReg ; -- Begin function fft_rtc_fwd_len2560_factors_4_4_4_10_4_wgs_128_tpt_128_halfLds_sp_ip_CI_unitstride_sbrr_R2C_dirReg
	.globl	fft_rtc_fwd_len2560_factors_4_4_4_10_4_wgs_128_tpt_128_halfLds_sp_ip_CI_unitstride_sbrr_R2C_dirReg
	.p2align	8
	.type	fft_rtc_fwd_len2560_factors_4_4_4_10_4_wgs_128_tpt_128_halfLds_sp_ip_CI_unitstride_sbrr_R2C_dirReg,@function
fft_rtc_fwd_len2560_factors_4_4_4_10_4_wgs_128_tpt_128_halfLds_sp_ip_CI_unitstride_sbrr_R2C_dirReg: ; @fft_rtc_fwd_len2560_factors_4_4_4_10_4_wgs_128_tpt_128_halfLds_sp_ip_CI_unitstride_sbrr_R2C_dirReg
; %bb.0:
	s_clause 0x2
	s_load_b128 s[4:7], s[0:1], 0x0
	s_load_b64 s[8:9], s[0:1], 0x50
	s_load_b64 s[10:11], s[0:1], 0x18
	v_mov_b32_e32 v3, 0
	v_mov_b32_e32 v1, 0
	v_dual_mov_b32 v2, 0 :: v_dual_mov_b32 v5, ttmp9
	s_mov_b32 s3, 0
	s_delay_alu instid0(VALU_DEP_3) | instskip(SKIP_2) | instid1(VALU_DEP_1)
	v_mov_b32_e32 v6, v3
	s_wait_kmcnt 0x0
	v_cmp_lt_u64_e64 s2, s[6:7], 2
	s_and_b32 vcc_lo, exec_lo, s2
	s_cbranch_vccnz .LBB0_8
; %bb.1:
	s_load_b64 s[14:15], s[0:1], 0x10
	v_mov_b32_e32 v1, 0
	v_mov_b32_e32 v2, 0
	s_add_nc_u64 s[12:13], s[10:11], 8
	s_mov_b64 s[16:17], 1
	s_wait_kmcnt 0x0
	s_add_nc_u64 s[14:15], s[14:15], 8
.LBB0_2:                                ; =>This Inner Loop Header: Depth=1
	s_load_b64 s[18:19], s[14:15], 0x0
                                        ; implicit-def: $vgpr7_vgpr8
	s_mov_b32 s2, exec_lo
	s_wait_kmcnt 0x0
	v_or_b32_e32 v4, s19, v6
	s_delay_alu instid0(VALU_DEP_1)
	v_cmpx_ne_u64_e32 0, v[3:4]
	s_wait_alu 0xfffe
	s_xor_b32 s20, exec_lo, s2
	s_cbranch_execz .LBB0_4
; %bb.3:                                ;   in Loop: Header=BB0_2 Depth=1
	s_cvt_f32_u32 s2, s18
	s_cvt_f32_u32 s21, s19
	s_sub_nc_u64 s[24:25], 0, s[18:19]
	s_wait_alu 0xfffe
	s_delay_alu instid0(SALU_CYCLE_1) | instskip(SKIP_1) | instid1(SALU_CYCLE_2)
	s_fmamk_f32 s2, s21, 0x4f800000, s2
	s_wait_alu 0xfffe
	v_s_rcp_f32 s2, s2
	s_delay_alu instid0(TRANS32_DEP_1) | instskip(SKIP_1) | instid1(SALU_CYCLE_2)
	s_mul_f32 s2, s2, 0x5f7ffffc
	s_wait_alu 0xfffe
	s_mul_f32 s21, s2, 0x2f800000
	s_wait_alu 0xfffe
	s_delay_alu instid0(SALU_CYCLE_2) | instskip(SKIP_1) | instid1(SALU_CYCLE_2)
	s_trunc_f32 s21, s21
	s_wait_alu 0xfffe
	s_fmamk_f32 s2, s21, 0xcf800000, s2
	s_cvt_u32_f32 s23, s21
	s_wait_alu 0xfffe
	s_delay_alu instid0(SALU_CYCLE_1) | instskip(SKIP_1) | instid1(SALU_CYCLE_2)
	s_cvt_u32_f32 s22, s2
	s_wait_alu 0xfffe
	s_mul_u64 s[26:27], s[24:25], s[22:23]
	s_wait_alu 0xfffe
	s_mul_hi_u32 s29, s22, s27
	s_mul_i32 s28, s22, s27
	s_mul_hi_u32 s2, s22, s26
	s_mul_i32 s30, s23, s26
	s_wait_alu 0xfffe
	s_add_nc_u64 s[28:29], s[2:3], s[28:29]
	s_mul_hi_u32 s21, s23, s26
	s_mul_hi_u32 s31, s23, s27
	s_add_co_u32 s2, s28, s30
	s_wait_alu 0xfffe
	s_add_co_ci_u32 s2, s29, s21
	s_mul_i32 s26, s23, s27
	s_add_co_ci_u32 s27, s31, 0
	s_wait_alu 0xfffe
	s_add_nc_u64 s[26:27], s[2:3], s[26:27]
	s_wait_alu 0xfffe
	v_add_co_u32 v4, s2, s22, s26
	s_delay_alu instid0(VALU_DEP_1) | instskip(SKIP_1) | instid1(VALU_DEP_1)
	s_cmp_lg_u32 s2, 0
	s_add_co_ci_u32 s23, s23, s27
	v_readfirstlane_b32 s22, v4
	s_wait_alu 0xfffe
	s_delay_alu instid0(VALU_DEP_1)
	s_mul_u64 s[24:25], s[24:25], s[22:23]
	s_wait_alu 0xfffe
	s_mul_hi_u32 s27, s22, s25
	s_mul_i32 s26, s22, s25
	s_mul_hi_u32 s2, s22, s24
	s_mul_i32 s28, s23, s24
	s_wait_alu 0xfffe
	s_add_nc_u64 s[26:27], s[2:3], s[26:27]
	s_mul_hi_u32 s21, s23, s24
	s_mul_hi_u32 s22, s23, s25
	s_wait_alu 0xfffe
	s_add_co_u32 s2, s26, s28
	s_add_co_ci_u32 s2, s27, s21
	s_mul_i32 s24, s23, s25
	s_add_co_ci_u32 s25, s22, 0
	s_wait_alu 0xfffe
	s_add_nc_u64 s[24:25], s[2:3], s[24:25]
	s_wait_alu 0xfffe
	v_add_co_u32 v4, s2, v4, s24
	s_delay_alu instid0(VALU_DEP_1) | instskip(SKIP_1) | instid1(VALU_DEP_1)
	s_cmp_lg_u32 s2, 0
	s_add_co_ci_u32 s2, s23, s25
	v_mul_hi_u32 v13, v5, v4
	s_wait_alu 0xfffe
	v_mad_co_u64_u32 v[7:8], null, v5, s2, 0
	v_mad_co_u64_u32 v[9:10], null, v6, v4, 0
	;; [unrolled: 1-line block ×3, first 2 shown]
	s_delay_alu instid0(VALU_DEP_3) | instskip(SKIP_1) | instid1(VALU_DEP_4)
	v_add_co_u32 v4, vcc_lo, v13, v7
	s_wait_alu 0xfffd
	v_add_co_ci_u32_e32 v7, vcc_lo, 0, v8, vcc_lo
	s_delay_alu instid0(VALU_DEP_2) | instskip(SKIP_1) | instid1(VALU_DEP_2)
	v_add_co_u32 v4, vcc_lo, v4, v9
	s_wait_alu 0xfffd
	v_add_co_ci_u32_e32 v4, vcc_lo, v7, v10, vcc_lo
	s_wait_alu 0xfffd
	v_add_co_ci_u32_e32 v7, vcc_lo, 0, v12, vcc_lo
	s_delay_alu instid0(VALU_DEP_2) | instskip(SKIP_1) | instid1(VALU_DEP_2)
	v_add_co_u32 v4, vcc_lo, v4, v11
	s_wait_alu 0xfffd
	v_add_co_ci_u32_e32 v9, vcc_lo, 0, v7, vcc_lo
	s_delay_alu instid0(VALU_DEP_2) | instskip(SKIP_1) | instid1(VALU_DEP_3)
	v_mul_lo_u32 v10, s19, v4
	v_mad_co_u64_u32 v[7:8], null, s18, v4, 0
	v_mul_lo_u32 v11, s18, v9
	s_delay_alu instid0(VALU_DEP_2) | instskip(NEXT) | instid1(VALU_DEP_2)
	v_sub_co_u32 v7, vcc_lo, v5, v7
	v_add3_u32 v8, v8, v11, v10
	s_delay_alu instid0(VALU_DEP_1) | instskip(SKIP_1) | instid1(VALU_DEP_1)
	v_sub_nc_u32_e32 v10, v6, v8
	s_wait_alu 0xfffd
	v_subrev_co_ci_u32_e64 v10, s2, s19, v10, vcc_lo
	v_add_co_u32 v11, s2, v4, 2
	s_wait_alu 0xf1ff
	v_add_co_ci_u32_e64 v12, s2, 0, v9, s2
	v_sub_co_u32 v13, s2, v7, s18
	v_sub_co_ci_u32_e32 v8, vcc_lo, v6, v8, vcc_lo
	s_wait_alu 0xf1ff
	v_subrev_co_ci_u32_e64 v10, s2, 0, v10, s2
	s_delay_alu instid0(VALU_DEP_3) | instskip(NEXT) | instid1(VALU_DEP_3)
	v_cmp_le_u32_e32 vcc_lo, s18, v13
	v_cmp_eq_u32_e64 s2, s19, v8
	s_wait_alu 0xfffd
	v_cndmask_b32_e64 v13, 0, -1, vcc_lo
	v_cmp_le_u32_e32 vcc_lo, s19, v10
	s_wait_alu 0xfffd
	v_cndmask_b32_e64 v14, 0, -1, vcc_lo
	v_cmp_le_u32_e32 vcc_lo, s18, v7
	;; [unrolled: 3-line block ×3, first 2 shown]
	s_wait_alu 0xfffd
	v_cndmask_b32_e64 v15, 0, -1, vcc_lo
	v_cmp_eq_u32_e32 vcc_lo, s19, v10
	s_wait_alu 0xf1ff
	s_delay_alu instid0(VALU_DEP_2)
	v_cndmask_b32_e64 v7, v15, v7, s2
	s_wait_alu 0xfffd
	v_cndmask_b32_e32 v10, v14, v13, vcc_lo
	v_add_co_u32 v13, vcc_lo, v4, 1
	s_wait_alu 0xfffd
	v_add_co_ci_u32_e32 v14, vcc_lo, 0, v9, vcc_lo
	s_delay_alu instid0(VALU_DEP_3) | instskip(SKIP_2) | instid1(VALU_DEP_3)
	v_cmp_ne_u32_e32 vcc_lo, 0, v10
	s_wait_alu 0xfffd
	v_cndmask_b32_e32 v10, v13, v11, vcc_lo
	v_cndmask_b32_e32 v8, v14, v12, vcc_lo
	v_cmp_ne_u32_e32 vcc_lo, 0, v7
	s_wait_alu 0xfffd
	s_delay_alu instid0(VALU_DEP_2)
	v_dual_cndmask_b32 v7, v4, v10 :: v_dual_cndmask_b32 v8, v9, v8
.LBB0_4:                                ;   in Loop: Header=BB0_2 Depth=1
	s_wait_alu 0xfffe
	s_and_not1_saveexec_b32 s2, s20
	s_cbranch_execz .LBB0_6
; %bb.5:                                ;   in Loop: Header=BB0_2 Depth=1
	v_cvt_f32_u32_e32 v4, s18
	s_sub_co_i32 s20, 0, s18
	s_delay_alu instid0(VALU_DEP_1) | instskip(NEXT) | instid1(TRANS32_DEP_1)
	v_rcp_iflag_f32_e32 v4, v4
	v_mul_f32_e32 v4, 0x4f7ffffe, v4
	s_delay_alu instid0(VALU_DEP_1) | instskip(SKIP_1) | instid1(VALU_DEP_1)
	v_cvt_u32_f32_e32 v4, v4
	s_wait_alu 0xfffe
	v_mul_lo_u32 v7, s20, v4
	s_delay_alu instid0(VALU_DEP_1) | instskip(NEXT) | instid1(VALU_DEP_1)
	v_mul_hi_u32 v7, v4, v7
	v_add_nc_u32_e32 v4, v4, v7
	s_delay_alu instid0(VALU_DEP_1) | instskip(NEXT) | instid1(VALU_DEP_1)
	v_mul_hi_u32 v4, v5, v4
	v_mul_lo_u32 v7, v4, s18
	v_add_nc_u32_e32 v8, 1, v4
	s_delay_alu instid0(VALU_DEP_2) | instskip(NEXT) | instid1(VALU_DEP_1)
	v_sub_nc_u32_e32 v7, v5, v7
	v_subrev_nc_u32_e32 v9, s18, v7
	v_cmp_le_u32_e32 vcc_lo, s18, v7
	s_wait_alu 0xfffd
	s_delay_alu instid0(VALU_DEP_2) | instskip(NEXT) | instid1(VALU_DEP_1)
	v_dual_cndmask_b32 v7, v7, v9 :: v_dual_cndmask_b32 v4, v4, v8
	v_cmp_le_u32_e32 vcc_lo, s18, v7
	s_delay_alu instid0(VALU_DEP_2) | instskip(SKIP_1) | instid1(VALU_DEP_1)
	v_add_nc_u32_e32 v8, 1, v4
	s_wait_alu 0xfffd
	v_dual_cndmask_b32 v7, v4, v8 :: v_dual_mov_b32 v8, v3
.LBB0_6:                                ;   in Loop: Header=BB0_2 Depth=1
	s_wait_alu 0xfffe
	s_or_b32 exec_lo, exec_lo, s2
	s_load_b64 s[20:21], s[12:13], 0x0
	s_delay_alu instid0(VALU_DEP_1)
	v_mul_lo_u32 v4, v8, s18
	v_mul_lo_u32 v11, v7, s19
	v_mad_co_u64_u32 v[9:10], null, v7, s18, 0
	s_add_nc_u64 s[16:17], s[16:17], 1
	s_add_nc_u64 s[12:13], s[12:13], 8
	s_wait_alu 0xfffe
	v_cmp_ge_u64_e64 s2, s[16:17], s[6:7]
	s_add_nc_u64 s[14:15], s[14:15], 8
	s_delay_alu instid0(VALU_DEP_2) | instskip(NEXT) | instid1(VALU_DEP_3)
	v_add3_u32 v4, v10, v11, v4
	v_sub_co_u32 v5, vcc_lo, v5, v9
	s_wait_alu 0xfffd
	s_delay_alu instid0(VALU_DEP_2) | instskip(SKIP_3) | instid1(VALU_DEP_2)
	v_sub_co_ci_u32_e32 v4, vcc_lo, v6, v4, vcc_lo
	s_and_b32 vcc_lo, exec_lo, s2
	s_wait_kmcnt 0x0
	v_mul_lo_u32 v6, s21, v5
	v_mul_lo_u32 v4, s20, v4
	v_mad_co_u64_u32 v[1:2], null, s20, v5, v[1:2]
	s_delay_alu instid0(VALU_DEP_1)
	v_add3_u32 v2, v6, v2, v4
	s_wait_alu 0xfffe
	s_cbranch_vccnz .LBB0_9
; %bb.7:                                ;   in Loop: Header=BB0_2 Depth=1
	v_dual_mov_b32 v5, v7 :: v_dual_mov_b32 v6, v8
	s_branch .LBB0_2
.LBB0_8:
	v_dual_mov_b32 v8, v6 :: v_dual_mov_b32 v7, v5
.LBB0_9:
	s_lshl_b64 s[2:3], s[6:7], 3
	v_or_b32_e32 v20, 0x80, v0
	s_wait_alu 0xfffe
	s_add_nc_u64 s[2:3], s[10:11], s[2:3]
	v_or_b32_e32 v23, 0x100, v0
	s_load_b64 s[2:3], s[2:3], 0x0
	s_load_b64 s[0:1], s[0:1], 0x20
	v_or_b32_e32 v22, 0x180, v0
	v_or_b32_e32 v19, 0x200, v0
	s_wait_kmcnt 0x0
	v_mul_lo_u32 v3, s2, v8
	v_mul_lo_u32 v4, s3, v7
	v_mad_co_u64_u32 v[1:2], null, s2, v7, v[1:2]
	v_cmp_gt_u64_e32 vcc_lo, s[0:1], v[7:8]
	v_cmp_le_u64_e64 s0, s[0:1], v[7:8]
	s_delay_alu instid0(VALU_DEP_3) | instskip(NEXT) | instid1(VALU_DEP_2)
	v_add3_u32 v2, v4, v2, v3
	s_and_saveexec_b32 s1, s0
	s_wait_alu 0xfffe
	s_xor_b32 s0, exec_lo, s1
; %bb.10:
	v_or_b32_e32 v20, 0x80, v0
	v_or_b32_e32 v23, 0x100, v0
	;; [unrolled: 1-line block ×4, first 2 shown]
; %bb.11:
	s_wait_alu 0xfffe
	s_or_saveexec_b32 s1, s0
	v_lshlrev_b64_e32 v[17:18], 3, v[1:2]
	v_lshlrev_b32_e32 v21, 3, v0
	s_wait_alu 0xfffe
	s_xor_b32 exec_lo, exec_lo, s1
	s_cbranch_execz .LBB0_13
; %bb.12:
	s_delay_alu instid0(VALU_DEP_2) | instskip(SKIP_3) | instid1(VALU_DEP_3)
	v_add_co_u32 v28, s0, s8, v17
	s_wait_alu 0xf1ff
	v_add_co_ci_u32_e64 v29, s0, s9, v18, s0
	v_or_b32_e32 v48, 0x1c00, v21
	v_add_co_u32 v1, s0, v28, v21
	v_or_b32_e32 v49, 0x3c00, v21
	s_wait_alu 0xf1ff
	v_add_co_ci_u32_e64 v2, s0, 0, v29, s0
	v_add_co_u32 v11, s0, v28, v48
	s_wait_alu 0xf1ff
	v_add_co_ci_u32_e64 v12, s0, 0, v29, s0
	v_add_co_u32 v28, s0, v28, v49
	s_wait_alu 0xf1ff
	v_add_co_ci_u32_e64 v29, s0, 0, v29, s0
	s_clause 0x13
	global_load_b64 v[3:4], v[1:2], off
	global_load_b64 v[5:6], v[1:2], off offset:1024
	global_load_b64 v[7:8], v[1:2], off offset:2048
	;; [unrolled: 1-line block ×11, first 2 shown]
	global_load_b64 v[11:12], v[11:12], off
	global_load_b64 v[28:29], v[28:29], off
	global_load_b64 v[38:39], v[1:2], off offset:13312
	global_load_b64 v[40:41], v[1:2], off offset:14336
	;; [unrolled: 1-line block ×6, first 2 shown]
	v_add_nc_u32_e32 v50, 0, v21
	v_add_nc_u32_e32 v48, 0, v48
	;; [unrolled: 1-line block ×3, first 2 shown]
	s_wait_loadcnt 0x12
	ds_store_2addr_stride64_b64 v50, v[3:4], v[5:6] offset1:2
	s_wait_loadcnt 0x10
	ds_store_2addr_stride64_b64 v50, v[7:8], v[9:10] offset0:4 offset1:6
	s_wait_loadcnt 0xe
	ds_store_2addr_stride64_b64 v50, v[13:14], v[15:16] offset0:8 offset1:10
	;; [unrolled: 2-line block ×6, first 2 shown]
	ds_store_b64 v48, v[11:12]
	ds_store_b64 v49, v[28:29]
	s_wait_loadcnt 0x2
	ds_store_2addr_stride64_b64 v50, v[42:43], v[44:45] offset0:32 offset1:34
	s_wait_loadcnt 0x0
	ds_store_2addr_stride64_b64 v50, v[46:47], v[1:2] offset0:36 offset1:38
.LBB0_13:
	s_or_b32 exec_lo, exec_lo, s1
	v_add_nc_u32_e32 v28, 0, v21
	global_wb scope:SCOPE_SE
	s_wait_dscnt 0x0
	s_barrier_signal -1
	s_barrier_wait -1
	global_inv scope:SCOPE_SE
	ds_load_2addr_stride64_b64 v[1:4], v28 offset1:2
	ds_load_2addr_stride64_b64 v[5:8], v28 offset0:20 offset1:22
	ds_load_2addr_stride64_b64 v[9:12], v28 offset0:8 offset1:10
	;; [unrolled: 1-line block ×9, first 2 shown]
	global_wb scope:SCOPE_SE
	s_wait_dscnt 0x0
	s_barrier_signal -1
	s_barrier_wait -1
	global_inv scope:SCOPE_SE
	v_dual_sub_f32 v5, v1, v5 :: v_dual_sub_f32 v6, v2, v6
	v_dual_sub_f32 v15, v11, v15 :: v_dual_sub_f32 v16, v12, v16
	v_sub_f32_e32 v49, v3, v7
	v_dual_sub_f32 v29, v24, v29 :: v_dual_sub_f32 v30, v25, v30
	s_delay_alu instid0(VALU_DEP_4) | instskip(NEXT) | instid1(VALU_DEP_4)
	v_fma_f32 v51, v1, 2.0, -v5
	v_fma_f32 v7, v11, 2.0, -v15
	v_sub_f32_e32 v50, v4, v8
	v_fma_f32 v52, v2, 2.0, -v6
	v_fma_f32 v8, v12, 2.0, -v16
	v_dual_sub_f32 v1, v5, v16 :: v_dual_add_f32 v2, v6, v15
	v_fma_f32 v15, v3, 2.0, -v49
	v_fma_f32 v11, v24, 2.0, -v29
	v_fma_f32 v12, v25, 2.0, -v30
	v_sub_f32_e32 v3, v51, v7
	v_fma_f32 v16, v4, 2.0, -v50
	s_delay_alu instid0(VALU_DEP_4) | instskip(SKIP_1) | instid1(VALU_DEP_3)
	v_dual_sub_f32 v4, v52, v8 :: v_dual_sub_f32 v7, v15, v11
	v_dual_sub_f32 v31, v26, v31 :: v_dual_sub_f32 v24, v49, v30
	v_sub_f32_e32 v8, v16, v12
	v_fma_f32 v11, v51, 2.0, -v3
	v_dual_sub_f32 v51, v33, v37 :: v_dual_sub_f32 v32, v27, v32
	v_add_f32_e32 v25, v50, v29
	v_fma_f32 v12, v52, 2.0, -v4
	v_sub_f32_e32 v46, v42, v46
	s_delay_alu instid0(VALU_DEP_4)
	v_fma_f32 v37, v33, 2.0, -v51
	v_fma_f32 v33, v26, 2.0, -v31
	v_sub_f32_e32 v30, v34, v38
	v_fma_f32 v26, v49, 2.0, -v24
	v_fma_f32 v5, v5, 2.0, -v1
	;; [unrolled: 1-line block ×3, first 2 shown]
	v_sub_f32_e32 v33, v37, v33
	v_fma_f32 v29, v34, 2.0, -v30
	v_fma_f32 v34, v27, 2.0, -v32
	;; [unrolled: 1-line block ×3, first 2 shown]
	v_dual_sub_f32 v49, v35, v39 :: v_dual_sub_f32 v50, v41, v45
	s_delay_alu instid0(VALU_DEP_3) | instskip(SKIP_1) | instid1(VALU_DEP_3)
	v_dual_sub_f32 v39, v51, v32 :: v_dual_sub_f32 v34, v29, v34
	v_fma_f32 v15, v15, 2.0, -v7
	v_fma_f32 v45, v35, 2.0, -v49
	s_delay_alu instid0(VALU_DEP_4)
	v_fma_f32 v35, v41, 2.0, -v50
	v_sub_f32_e32 v52, v36, v40
	v_add_f32_e32 v40, v30, v31
	v_fma_f32 v38, v29, 2.0, -v34
	v_sub_f32_e32 v29, v9, v13
	v_fma_f32 v32, v42, 2.0, -v46
	v_sub_f32_e32 v35, v45, v35
	v_fma_f32 v31, v36, 2.0, -v52
	v_fma_f32 v41, v51, 2.0, -v39
	;; [unrolled: 1-line block ×3, first 2 shown]
	v_sub_f32_e32 v13, v49, v46
	v_fma_f32 v16, v16, 2.0, -v8
	v_sub_f32_e32 v36, v31, v32
	v_dual_sub_f32 v32, v43, v47 :: v_dual_sub_f32 v47, v44, v48
	v_fma_f32 v42, v30, 2.0, -v40
	v_sub_f32_e32 v30, v10, v14
	v_fma_f32 v9, v49, 2.0, -v13
	v_fma_f32 v37, v37, 2.0, -v33
	;; [unrolled: 1-line block ×3, first 2 shown]
	v_sub_f32_e32 v47, v29, v47
	v_fma_f32 v53, v10, 2.0, -v30
	v_fma_f32 v10, v43, 2.0, -v32
	;; [unrolled: 1-line block ×4, first 2 shown]
	v_lshl_add_u32 v31, v20, 5, 0
	s_delay_alu instid0(VALU_DEP_4) | instskip(NEXT) | instid1(VALU_DEP_1)
	v_dual_sub_f32 v44, v53, v44 :: v_dual_sub_f32 v43, v51, v10
	v_fma_f32 v49, v51, 2.0, -v43
	v_fma_f32 v51, v29, 2.0, -v47
	v_mad_u32_u24 v29, v0, 24, v28
	ds_store_2addr_b64 v29, v[11:12], v[5:6] offset1:1
	ds_store_2addr_b64 v29, v[3:4], v[1:2] offset0:2 offset1:3
	v_and_b32_e32 v11, 3, v0
	v_dual_add_f32 v48, v30, v32 :: v_dual_lshlrev_b32 v3, 2, v23
	v_lshl_add_u32 v32, v22, 5, 0
	v_lshl_add_u32 v29, v19, 5, 0
	s_delay_alu instid0(VALU_DEP_4)
	v_mul_u32_u24_e32 v1, 3, v11
	v_add_f32_e32 v14, v52, v50
	v_fma_f32 v50, v53, 2.0, -v44
	ds_store_2addr_b64 v31, v[15:16], v[26:27] offset1:1
	ds_store_2addr_b64 v31, v[7:8], v[24:25] offset0:2 offset1:3
	v_lshlrev_b32_e32 v1, 3, v1
	v_fma_f32 v10, v52, 2.0, -v14
	v_fma_f32 v52, v30, 2.0, -v48
	v_lshl_add_u32 v30, v23, 5, 0
	ds_store_2addr_b64 v30, v[37:38], v[41:42] offset1:1
	ds_store_2addr_b64 v30, v[33:34], v[39:40] offset0:2 offset1:3
	ds_store_2addr_b64 v32, v[45:46], v[9:10] offset1:1
	ds_store_2addr_b64 v32, v[35:36], v[13:14] offset0:2 offset1:3
	;; [unrolled: 2-line block ×3, first 2 shown]
	global_wb scope:SCOPE_SE
	s_wait_dscnt 0x0
	s_barrier_signal -1
	s_barrier_wait -1
	global_inv scope:SCOPE_SE
	s_clause 0x1
	global_load_b128 v[6:9], v1, s[4:5]
	global_load_b64 v[14:15], v1, s[4:5] offset:16
	v_lshlrev_b32_e32 v4, 2, v22
	v_lshlrev_b32_e32 v5, 2, v19
	;; [unrolled: 1-line block ×3, first 2 shown]
	v_and_or_b32 v13, 0x5f0, v3, v11
	v_mad_i32_i24 v35, 0xffffffe8, v23, v30
	v_and_or_b32 v24, 0x7f0, v4, v11
	v_and_or_b32 v37, 0x9f0, v5, v11
	;; [unrolled: 1-line block ×3, first 2 shown]
	v_mad_i32_i24 v36, 0xffffffe8, v20, v31
	v_mad_i32_i24 v34, 0xffffffe8, v22, v32
	v_lshl_add_u32 v72, v24, 3, 0
	ds_load_2addr_stride64_b64 v[24:27], v28 offset0:18 offset1:20
	v_lshl_add_u32 v73, v37, 3, 0
	ds_load_2addr_stride64_b64 v[37:40], v28 offset0:30 offset1:32
	v_lshlrev_b32_e32 v1, 2, v0
	v_and_b32_e32 v16, 15, v0
	v_add_nc_u32_e32 v41, 0x1800, v28
	v_mad_i32_i24 v33, 0xffffffe8, v19, v29
	v_lshl_add_u32 v70, v12, 3, 0
	v_lshl_add_u32 v71, v13, 3, 0
	s_wait_loadcnt_dscnt 0x101
	v_mul_f32_e32 v78, v9, v26
	s_wait_loadcnt_dscnt 0x0
	v_mul_f32_e32 v80, v15, v37
	v_and_or_b32 v10, 0x1f0, v1, v11
	v_mul_f32_e32 v79, v15, v38
	v_mul_u32_u24_e32 v42, 3, v16
	v_mul_f32_e32 v85, v40, v15
	v_mul_f32_e32 v86, v39, v15
	v_lshl_add_u32 v69, v10, 3, 0
	ds_load_2addr_stride64_b64 v[10:13], v28 offset1:10
	v_lshlrev_b32_e32 v74, 3, v42
	ds_load_2addr_b32 v[57:58], v41 offset1:1
	ds_load_2addr_stride64_b64 v[41:44], v28 offset0:22 offset1:24
	ds_load_2addr_stride64_b64 v[45:48], v28 offset0:14 offset1:16
	;; [unrolled: 1-line block ×3, first 2 shown]
	ds_load_b64 v[59:60], v35
	ds_load_b64 v[61:62], v34
	ds_load_2addr_stride64_b64 v[53:56], v28 offset0:26 offset1:28
	ds_load_b64 v[63:64], v33
	ds_load_b64 v[65:66], v36
	ds_load_b64 v[67:68], v28 offset:19456
	v_fmac_f32_e32 v80, v14, v38
	v_fma_f32 v38, v39, v14, -v85
	v_fma_f32 v37, v14, v37, -v79
	v_dual_fmac_f32 v86, v40, v14 :: v_dual_mul_f32 v77, v9, v27
	global_wb scope:SCOPE_SE
	s_wait_dscnt 0x0
	s_barrier_signal -1
	s_barrier_wait -1
	global_inv scope:SCOPE_SE
	v_and_or_b32 v1, 0x1c0, v1, v16
	v_mul_f32_e32 v82, v7, v57
	v_mul_f32_e32 v83, v42, v9
	v_dual_mul_f32 v84, v41, v9 :: v_dual_mul_f32 v87, v46, v7
	v_dual_mul_f32 v88, v45, v7 :: v_dual_mul_f32 v39, v44, v9
	v_dual_mul_f32 v40, v43, v9 :: v_dual_mul_f32 v79, v50, v15
	s_delay_alu instid0(VALU_DEP_3) | instskip(NEXT) | instid1(VALU_DEP_3)
	v_dual_mul_f32 v85, v49, v15 :: v_dual_fmac_f32 v84, v42, v8
	v_fma_f32 v39, v43, v8, -v39
	v_mul_f32_e32 v43, v47, v7
	s_delay_alu instid0(VALU_DEP_3)
	v_dual_mul_f32 v42, v48, v7 :: v_dual_fmac_f32 v85, v50, v14
	v_mul_f32_e32 v76, v7, v12
	v_mul_f32_e32 v75, v7, v13
	;; [unrolled: 1-line block ×3, first 2 shown]
	v_fma_f32 v41, v41, v8, -v83
	v_mul_f32_e32 v83, v53, v9
	v_fma_f32 v45, v45, v6, -v87
	v_dual_fmac_f32 v88, v46, v6 :: v_dual_mul_f32 v87, v24, v7
	v_fma_f32 v42, v47, v6, -v42
	v_fmac_f32_e32 v43, v48, v6
	v_fmac_f32_e32 v40, v44, v8
	v_dual_mul_f32 v44, v54, v9 :: v_dual_mul_f32 v47, v51, v15
	v_mul_f32_e32 v46, v52, v15
	v_mul_f32_e32 v48, v25, v7
	v_fma_f32 v7, v49, v14, -v79
	v_dual_mul_f32 v49, v56, v9 :: v_dual_fmac_f32 v82, v58, v6
	v_dual_mul_f32 v50, v68, v15 :: v_dual_fmac_f32 v83, v54, v8
	;; [unrolled: 1-line block ×3, first 2 shown]
	v_mul_f32_e32 v9, v55, v9
	v_fma_f32 v13, v8, v26, -v77
	v_fmac_f32_e32 v47, v52, v14
	v_fma_f32 v12, v6, v12, -v75
	v_dual_fmac_f32 v78, v8, v27 :: v_dual_fmac_f32 v87, v25, v6
	v_fma_f32 v26, v6, v57, -v81
	v_fma_f32 v24, v24, v6, -v48
	;; [unrolled: 1-line block ×3, first 2 shown]
	v_fmac_f32_e32 v15, v68, v14
	v_fma_f32 v46, v51, v14, -v46
	v_fma_f32 v27, v53, v8, -v44
	v_dual_fmac_f32 v9, v56, v8 :: v_dual_sub_f32 v44, v10, v13
	v_fma_f32 v8, v67, v14, -v50
	v_dual_sub_f32 v14, v76, v80 :: v_dual_sub_f32 v41, v65, v41
	v_dual_sub_f32 v50, v59, v39 :: v_dual_sub_f32 v51, v60, v40
	v_sub_f32_e32 v54, v63, v6
	s_delay_alu instid0(VALU_DEP_3)
	v_dual_sub_f32 v15, v87, v15 :: v_dual_sub_f32 v6, v44, v14
	v_dual_sub_f32 v48, v11, v78 :: v_dual_sub_f32 v13, v12, v37
	v_sub_f32_e32 v49, v66, v84
	v_dual_sub_f32 v25, v26, v38 :: v_dual_sub_f32 v52, v61, v27
	v_dual_sub_f32 v37, v82, v86 :: v_dual_sub_f32 v40, v43, v47
	;; [unrolled: 1-line block ×3, first 2 shown]
	v_sub_f32_e32 v53, v62, v83
	v_dual_sub_f32 v27, v42, v46 :: v_dual_sub_f32 v46, v24, v8
	s_delay_alu instid0(VALU_DEP_4)
	v_sub_f32_e32 v8, v41, v37
	v_fma_f32 v58, v76, 2.0, -v14
	v_dual_sub_f32 v14, v54, v15 :: v_dual_sub_f32 v55, v64, v9
	v_fma_f32 v56, v10, 2.0, -v44
	v_sub_f32_e32 v10, v50, v39
	v_fma_f32 v57, v11, 2.0, -v48
	v_fma_f32 v47, v12, 2.0, -v13
	;; [unrolled: 1-line block ×10, first 2 shown]
	v_dual_add_f32 v9, v49, v25 :: v_dual_sub_f32 v12, v52, v40
	v_fma_f32 v61, v61, 2.0, -v52
	v_fma_f32 v62, v62, 2.0, -v53
	;; [unrolled: 1-line block ×8, first 2 shown]
	v_add_f32_e32 v7, v48, v13
	v_dual_add_f32 v11, v51, v38 :: v_dual_sub_f32 v24, v56, v47
	v_add_f32_e32 v13, v53, v27
	v_sub_f32_e32 v25, v57, v58
	v_dual_add_f32 v15, v55, v46 :: v_dual_sub_f32 v42, v60, v75
	v_dual_sub_f32 v37, v65, v67 :: v_dual_sub_f32 v38, v66, v68
	v_fma_f32 v39, v41, 2.0, -v8
	v_sub_f32_e32 v41, v59, v45
	v_fma_f32 v40, v49, 2.0, -v9
	v_fma_f32 v43, v50, 2.0, -v10
	v_dual_sub_f32 v45, v61, v76 :: v_dual_sub_f32 v46, v62, v77
	v_dual_sub_f32 v49, v63, v78 :: v_dual_sub_f32 v50, v64, v79
	v_fma_f32 v26, v44, 2.0, -v6
	v_fma_f32 v27, v48, 2.0, -v7
	;; [unrolled: 1-line block ×17, first 2 shown]
	ds_store_2addr_b64 v69, v[24:25], v[6:7] offset0:8 offset1:12
	ds_store_2addr_b64 v69, v[53:54], v[26:27] offset1:4
	ds_store_2addr_b64 v70, v[55:56], v[39:40] offset1:4
	ds_store_2addr_b64 v70, v[37:38], v[8:9] offset0:8 offset1:12
	ds_store_2addr_b64 v71, v[57:58], v[43:44] offset1:4
	ds_store_2addr_b64 v71, v[41:42], v[10:11] offset0:8 offset1:12
	;; [unrolled: 2-line block ×4, first 2 shown]
	global_wb scope:SCOPE_SE
	s_wait_dscnt 0x0
	s_barrier_signal -1
	s_barrier_wait -1
	global_inv scope:SCOPE_SE
	s_clause 0x1
	global_load_b128 v[6:9], v74, s[4:5] offset:96
	global_load_b64 v[14:15], v74, s[4:5] offset:112
	v_and_or_b32 v10, 0x5c0, v3, v16
	v_and_or_b32 v24, 0x7c0, v4, v16
	;; [unrolled: 1-line block ×3, first 2 shown]
	v_lshl_add_u32 v66, v1, 3, 0
	ds_load_2addr_stride64_b64 v[38:41], v28 offset0:12 offset1:14
	v_lshl_add_u32 v68, v10, 3, 0
	ds_load_2addr_stride64_b64 v[10:13], v28 offset0:20 offset1:22
	;; [unrolled: 2-line block ×3, first 2 shown]
	v_lshl_add_u32 v67, v2, 3, 0
	ds_load_2addr_stride64_b64 v[1:4], v28 offset1:10
	ds_load_2addr_stride64_b64 v[42:45], v28 offset0:32 offset1:34
	ds_load_2addr_stride64_b64 v[46:49], v28 offset0:24 offset1:26
	;; [unrolled: 1-line block ×4, first 2 shown]
	ds_load_b64 v[58:59], v36
	ds_load_b64 v[60:61], v35
	ds_load_b64 v[62:63], v34
	ds_load_b64 v[64:65], v33
	v_and_b32_e32 v37, 63, v0
	v_and_or_b32 v5, 0x9c0, v5, v16
	global_wb scope:SCOPE_SE
	s_wait_loadcnt_dscnt 0x0
	s_barrier_signal -1
	s_barrier_wait -1
	global_inv scope:SCOPE_SE
	v_lshl_add_u32 v70, v5, 3, 0
	v_mul_f32_e32 v72, v9, v11
	v_mul_f32_e32 v74, v15, v27
	v_mul_u32_u24_e32 v16, 9, v37
	v_dual_mul_f32 v5, v7, v4 :: v_dual_mul_f32 v82, v41, v7
	v_dual_mul_f32 v73, v9, v10 :: v_dual_mul_f32 v80, v43, v15
	s_delay_alu instid0(VALU_DEP_3)
	v_dual_mul_f32 v76, v7, v39 :: v_dual_lshlrev_b32 v71, 3, v16
	v_mul_f32_e32 v16, v7, v3
	v_dual_mul_f32 v75, v15, v26 :: v_dual_mul_f32 v86, v45, v15
	v_dual_mul_f32 v77, v7, v38 :: v_dual_mul_f32 v78, v9, v13
	;; [unrolled: 1-line block ×3, first 2 shown]
	v_mul_f32_e32 v81, v42, v15
	v_dual_mul_f32 v83, v40, v7 :: v_dual_fmac_f32 v16, v6, v4
	v_mul_f32_e32 v84, v47, v9
	v_fma_f32 v10, v8, v10, -v72
	v_mul_f32_e32 v72, v48, v9
	v_mul_f32_e32 v85, v46, v9
	v_fmac_f32_e32 v73, v8, v11
	v_fma_f32 v11, v8, v12, -v78
	v_dual_fmac_f32 v79, v8, v13 :: v_dual_mul_f32 v12, v50, v7
	v_mul_f32_e32 v87, v44, v15
	v_dual_mul_f32 v13, v49, v9 :: v_dual_mul_f32 v78, v55, v15
	v_fma_f32 v38, v6, v38, -v76
	v_mul_f32_e32 v76, v52, v7
	v_fmac_f32_e32 v77, v6, v39
	v_fma_f32 v39, v40, v6, -v82
	v_mul_f32_e32 v40, v54, v15
	v_fma_f32 v42, v42, v14, -v80
	v_fmac_f32_e32 v81, v43, v14
	v_fma_f32 v43, v44, v14, -v86
	v_mul_f32_e32 v44, v57, v15
	v_mul_f32_e32 v15, v56, v15
	v_fma_f32 v3, v6, v3, -v5
	v_fma_f32 v4, v14, v26, -v74
	;; [unrolled: 1-line block ×3, first 2 shown]
	v_dual_fmac_f32 v75, v14, v27 :: v_dual_fmac_f32 v72, v49, v8
	v_fmac_f32_e32 v83, v41, v6
	s_delay_alu instid0(VALU_DEP_4)
	v_dual_mul_f32 v41, v53, v7 :: v_dual_sub_f32 v4, v3, v4
	v_mul_f32_e32 v7, v25, v9
	v_dual_mul_f32 v9, v24, v9 :: v_dual_fmac_f32 v76, v53, v6
	v_fmac_f32_e32 v85, v47, v8
	v_fma_f32 v26, v50, v6, -v88
	v_fmac_f32_e32 v12, v51, v6
	v_fmac_f32_e32 v87, v45, v14
	v_fma_f32 v13, v48, v8, -v13
	v_fma_f32 v27, v54, v14, -v78
	v_fmac_f32_e32 v40, v55, v14
	v_fma_f32 v41, v52, v6, -v41
	v_fma_f32 v6, v24, v8, -v7
	v_dual_fmac_f32 v9, v25, v8 :: v_dual_sub_f32 v46, v62, v13
	v_fma_f32 v7, v56, v14, -v44
	v_dual_sub_f32 v24, v2, v73 :: v_dual_fmac_f32 v15, v57, v14
	v_sub_f32_e32 v14, v1, v10
	v_sub_f32_e32 v10, v38, v42
	;; [unrolled: 1-line block ×4, first 2 shown]
	v_dual_sub_f32 v25, v58, v11 :: v_dual_sub_f32 v48, v64, v6
	v_dual_sub_f32 v44, v59, v79 :: v_dual_sub_f32 v11, v77, v81
	v_sub_f32_e32 v47, v63, v72
	v_sub_f32_e32 v13, v26, v27
	v_fma_f32 v51, v2, 2.0, -v24
	v_fma_f32 v16, v16, 2.0, -v8
	v_sub_f32_e32 v45, v61, v85
	v_dual_sub_f32 v27, v12, v40 :: v_dual_sub_f32 v40, v41, v7
	v_fma_f32 v55, v60, 2.0, -v42
	v_sub_f32_e32 v49, v65, v9
	v_dual_sub_f32 v43, v39, v43 :: v_dual_add_f32 v2, v24, v4
	v_sub_f32_e32 v9, v76, v15
	v_fma_f32 v15, v3, 2.0, -v4
	v_fma_f32 v53, v59, 2.0, -v44
	v_add_f32_e32 v4, v44, v10
	v_fma_f32 v54, v77, 2.0, -v11
	v_sub_f32_e32 v5, v83, v87
	v_fma_f32 v38, v38, 2.0, -v10
	v_add_f32_e32 v10, v49, v40
	v_fma_f32 v39, v39, 2.0, -v43
	v_fma_f32 v50, v1, 2.0, -v14
	;; [unrolled: 1-line block ×4, first 2 shown]
	v_sub_f32_e32 v12, v51, v16
	v_sub_f32_e32 v16, v53, v54
	v_fma_f32 v56, v61, 2.0, -v45
	v_fma_f32 v57, v83, 2.0, -v5
	v_sub_f32_e32 v3, v25, v11
	v_add_f32_e32 v6, v45, v43
	v_fma_f32 v58, v62, 2.0, -v46
	v_fma_f32 v59, v63, 2.0, -v47
	;; [unrolled: 1-line block ×5, first 2 shown]
	v_dual_sub_f32 v1, v14, v8 :: v_dual_add_f32 v8, v47, v13
	v_fma_f32 v64, v76, 2.0, -v9
	v_sub_f32_e32 v26, v55, v39
	v_fma_f32 v62, v65, 2.0, -v49
	v_sub_f32_e32 v5, v42, v5
	v_sub_f32_e32 v7, v46, v27
	v_dual_sub_f32 v9, v48, v9 :: v_dual_sub_f32 v40, v58, v43
	v_sub_f32_e32 v11, v50, v15
	v_sub_f32_e32 v15, v52, v38
	;; [unrolled: 1-line block ×3, first 2 shown]
	v_fma_f32 v13, v14, 2.0, -v1
	v_fma_f32 v14, v24, 2.0, -v2
	;; [unrolled: 1-line block ×5, first 2 shown]
	v_dual_sub_f32 v41, v59, v60 :: v_dual_sub_f32 v44, v61, v63
	v_sub_f32_e32 v45, v62, v64
	v_fma_f32 v38, v42, 2.0, -v5
	v_fma_f32 v42, v46, 2.0, -v7
	;; [unrolled: 1-line block ×15, first 2 shown]
	ds_store_2addr_b64 v66, v[11:12], v[1:2] offset0:32 offset1:48
	ds_store_2addr_b64 v66, v[48:49], v[13:14] offset1:16
	ds_store_2addr_b64 v67, v[50:51], v[24:25] offset1:16
	ds_store_2addr_b64 v67, v[15:16], v[3:4] offset0:32 offset1:48
	ds_store_2addr_b64 v68, v[52:53], v[38:39] offset1:16
	ds_store_2addr_b64 v68, v[26:27], v[5:6] offset0:32 offset1:48
	;; [unrolled: 2-line block ×4, first 2 shown]
	global_wb scope:SCOPE_SE
	s_wait_dscnt 0x0
	s_barrier_signal -1
	s_barrier_wait -1
	global_inv scope:SCOPE_SE
	s_clause 0x4
	global_load_b128 v[5:8], v71, s[4:5] offset:480
	global_load_b128 v[13:16], v71, s[4:5] offset:496
	global_load_b128 v[9:12], v71, s[4:5] offset:512
	global_load_b128 v[1:4], v71, s[4:5] offset:528
	global_load_b64 v[26:27], v71, s[4:5] offset:544
	v_lshrrev_b32_e32 v38, 6, v0
	v_mul_i32_i24_e32 v24, 3, v20
	v_mov_b32_e32 v25, 0
	v_lshrrev_b32_e32 v39, 6, v20
	s_delay_alu instid0(VALU_DEP_4) | instskip(NEXT) | instid1(VALU_DEP_3)
	v_mul_u32_u24_e32 v38, 0x280, v38
	v_lshlrev_b64_e32 v[42:43], 3, v[24:25]
	v_mul_i32_i24_e32 v24, 3, v23
	s_delay_alu instid0(VALU_DEP_4) | instskip(NEXT) | instid1(VALU_DEP_4)
	v_mul_lo_u32 v48, 0x280, v39
	v_or_b32_e32 v82, v38, v37
	ds_load_b64 v[70:71], v35
	ds_load_2addr_stride64_b64 v[38:41], v28 offset0:14 offset1:16
	v_add_co_u32 v72, s0, s4, v42
	v_lshlrev_b64_e32 v[46:47], 3, v[24:25]
	s_wait_alu 0xf1ff
	v_add_co_ci_u32_e64 v73, s0, s5, v43, s0
	ds_load_2addr_stride64_b64 v[42:45], v28 offset0:10 offset1:12
	v_or_b32_e32 v24, v48, v37
	v_add_co_u32 v74, s0, s4, v46
	s_wait_alu 0xf1ff
	v_add_co_ci_u32_e64 v75, s0, s5, v47, s0
	ds_load_2addr_stride64_b64 v[46:49], v28 offset0:18 offset1:20
	ds_load_2addr_stride64_b64 v[50:53], v28 offset1:6
	ds_load_b64 v[76:77], v33
	ds_load_2addr_stride64_b64 v[54:57], v28 offset0:22 offset1:24
	ds_load_2addr_stride64_b64 v[58:61], v28 offset0:26 offset1:28
	;; [unrolled: 1-line block ×4, first 2 shown]
	ds_load_b64 v[78:79], v36
	ds_load_b64 v[80:81], v28 offset:19456
	v_lshl_add_u32 v24, v24, 3, 0
	global_wb scope:SCOPE_SE
	s_wait_loadcnt_dscnt 0x0
	s_barrier_signal -1
	s_barrier_wait -1
	global_inv scope:SCOPE_SE
	v_dual_mul_f32 v86, v38, v14 :: v_dual_mul_f32 v83, v16, v41
	v_dual_mul_f32 v84, v16, v40 :: v_dual_mul_f32 v85, v39, v14
	v_mul_f32_e32 v87, v14, v45
	s_delay_alu instid0(VALU_DEP_3)
	v_fmac_f32_e32 v86, v39, v13
	v_mul_f32_e32 v14, v14, v44
	v_mul_f32_e32 v39, v47, v16
	;; [unrolled: 1-line block ×3, first 2 shown]
	v_fma_f32 v40, v15, v40, -v83
	v_fmac_f32_e32 v84, v15, v41
	v_fma_f32 v38, v38, v13, -v85
	v_mul_f32_e32 v41, v49, v10
	v_fma_f32 v44, v13, v44, -v87
	v_fmac_f32_e32 v14, v13, v45
	v_fma_f32 v13, v46, v15, -v39
	v_dual_fmac_f32 v16, v47, v15 :: v_dual_mul_f32 v15, v48, v10
	v_mul_f32_e32 v46, v57, v12
	v_mul_f32_e32 v47, v56, v12
	;; [unrolled: 1-line block ×3, first 2 shown]
	s_delay_alu instid0(VALU_DEP_4)
	v_fmac_f32_e32 v15, v49, v9
	v_mul_f32_e32 v49, v59, v12
	v_fma_f32 v46, v56, v11, -v46
	v_mul_f32_e32 v56, v64, v4
	v_fma_f32 v41, v48, v9, -v41
	v_mul_f32_e32 v48, v55, v10
	v_mul_f32_e32 v10, v54, v10
	;; [unrolled: 1-line block ×3, first 2 shown]
	v_fma_f32 v49, v58, v11, -v49
	v_fmac_f32_e32 v56, v65, v3
	v_fma_f32 v48, v54, v9, -v48
	v_dual_fmac_f32 v10, v55, v9 :: v_dual_mul_f32 v9, v58, v12
	v_mul_f32_e32 v12, v8, v76
	v_mul_f32_e32 v54, v61, v2
	v_dual_mul_f32 v55, v60, v2 :: v_dual_mul_f32 v58, v43, v8
	v_mul_f32_e32 v8, v42, v8
	v_mul_f32_e32 v39, v6, v70
	s_delay_alu instid0(VALU_DEP_4) | instskip(NEXT) | instid1(VALU_DEP_4)
	v_fma_f32 v54, v60, v1, -v54
	v_fmac_f32_e32 v55, v61, v1
	v_mul_f32_e32 v60, v53, v6
	v_mul_f32_e32 v61, v52, v6
	v_fma_f32 v6, v42, v7, -v58
	v_mul_f32_e32 v42, v63, v2
	v_dual_mul_f32 v2, v62, v2 :: v_dual_fmac_f32 v47, v57, v11
	v_fma_f32 v45, v7, v76, -v45
	v_fmac_f32_e32 v12, v7, v77
	v_fmac_f32_e32 v9, v59, v11
	s_delay_alu instid0(VALU_DEP_4)
	v_dual_mul_f32 v11, v65, v4 :: v_dual_fmac_f32 v2, v63, v1
	v_mul_f32_e32 v57, v69, v27
	v_mul_f32_e32 v59, v68, v27
	v_fmac_f32_e32 v8, v43, v7
	v_mul_f32_e32 v43, v67, v4
	v_mul_f32_e32 v4, v66, v4
	;; [unrolled: 1-line block ×3, first 2 shown]
	v_fma_f32 v7, v64, v3, -v11
	v_fma_f32 v37, v5, v70, -v37
	v_dual_fmac_f32 v39, v5, v71 :: v_dual_sub_f32 v64, v12, v84
	v_mul_f32_e32 v27, v80, v27
	v_fma_f32 v52, v52, v5, -v60
	v_fmac_f32_e32 v4, v67, v3
	v_dual_sub_f32 v60, v46, v7 :: v_dual_fmac_f32 v61, v53, v5
	v_fma_f32 v5, v62, v1, -v42
	v_fma_f32 v1, v66, v3, -v43
	;; [unrolled: 1-line block ×3, first 2 shown]
	v_add_f32_e32 v42, v40, v46
	v_fma_f32 v11, v68, v26, -v57
	v_dual_sub_f32 v53, v7, v46 :: v_dual_sub_f32 v80, v41, v44
	v_dual_sub_f32 v58, v40, v45 :: v_dual_add_f32 v57, v45, v7
	v_dual_add_f32 v62, v51, v12 :: v_dual_fmac_f32 v59, v69, v26
	v_add_f32_e32 v66, v12, v56
	v_sub_f32_e32 v43, v45, v40
	v_dual_add_f32 v63, v84, v47 :: v_dual_add_f32 v70, v41, v54
	v_dual_sub_f32 v68, v47, v56 :: v_dual_fmac_f32 v27, v81, v26
	v_add_f32_e32 v26, v50, v45
	v_sub_f32_e32 v81, v54, v11
	v_fma_f32 v42, -0.5, v42, v50
	v_sub_f32_e32 v85, v59, v55
	v_add_f32_e32 v87, v14, v59
	v_add_f32_e32 v58, v58, v60
	v_fma_f32 v50, -0.5, v57, v50
	v_fma_f32 v57, -0.5, v63, v51
	;; [unrolled: 1-line block ×3, first 2 shown]
	v_add_f32_e32 v63, v15, v55
	v_sub_f32_e32 v66, v14, v15
	v_sub_f32_e32 v60, v55, v59
	v_dual_add_f32 v43, v43, v53 :: v_dual_add_f32 v88, v38, v3
	v_sub_f32_e32 v53, v15, v14
	v_sub_f32_e32 v65, v56, v47
	;; [unrolled: 1-line block ×3, first 2 shown]
	v_dual_sub_f32 v71, v44, v41 :: v_dual_sub_f32 v76, v11, v54
	v_dual_add_f32 v77, v44, v11 :: v_dual_add_f32 v66, v66, v85
	v_dual_sub_f32 v85, v8, v16 :: v_dual_add_f32 v92, v86, v27
	v_fma_f32 v63, -0.5, v63, v39
	v_add_f32_e32 v53, v53, v60
	v_dual_add_f32 v60, v8, v4 :: v_dual_add_f32 v83, v39, v14
	v_dual_add_f32 v80, v80, v81 :: v_dual_fmac_f32 v39, -0.5, v87
	v_dual_sub_f32 v87, v4, v9 :: v_dual_sub_f32 v94, v2, v27
	v_sub_f32_e32 v91, v27, v2
	v_add_f32_e32 v81, v16, v9
	v_fma_f32 v70, -0.5, v70, v37
	s_delay_alu instid0(VALU_DEP_4) | instskip(SKIP_1) | instid1(VALU_DEP_4)
	v_dual_add_f32 v85, v85, v87 :: v_dual_add_f32 v26, v26, v40
	v_add_f32_e32 v87, v79, v8
	v_fma_f32 v81, -0.5, v81, v79
	v_fmac_f32_e32 v79, -0.5, v60
	v_sub_f32_e32 v60, v38, v48
	v_dual_add_f32 v71, v71, v76 :: v_dual_sub_f32 v90, v5, v3
	v_dual_sub_f32 v76, v13, v6 :: v_dual_add_f32 v67, v67, v68
	v_sub_f32_e32 v68, v1, v49
	v_dual_add_f32 v69, v37, v44 :: v_dual_add_f32 v64, v64, v65
	v_sub_f32_e32 v65, v6, v13
	v_fmac_f32_e32 v37, -0.5, v77
	v_dual_sub_f32 v77, v49, v1 :: v_dual_sub_f32 v40, v40, v46
	s_delay_alu instid0(VALU_DEP_3) | instskip(SKIP_1) | instid1(VALU_DEP_3)
	v_dual_add_f32 v26, v26, v46 :: v_dual_add_f32 v65, v65, v68
	v_sub_f32_e32 v68, v16, v8
	v_dual_add_f32 v76, v76, v77 :: v_dual_sub_f32 v77, v9, v4
	v_add_f32_e32 v46, v62, v84
	v_dual_sub_f32 v62, v84, v47 :: v_dual_add_f32 v93, v61, v86
	v_sub_f32_e32 v12, v12, v56
	s_delay_alu instid0(VALU_DEP_4) | instskip(NEXT) | instid1(VALU_DEP_4)
	v_add_f32_e32 v68, v68, v77
	v_dual_sub_f32 v77, v3, v5 :: v_dual_add_f32 v46, v46, v47
	v_add_f32_e32 v47, v69, v41
	v_sub_f32_e32 v41, v41, v54
	s_delay_alu instid0(VALU_DEP_3) | instskip(SKIP_1) | instid1(VALU_DEP_4)
	v_dual_sub_f32 v45, v45, v7 :: v_dual_add_f32 v60, v60, v77
	v_add_f32_e32 v77, v48, v5
	v_add_f32_e32 v47, v47, v54
	v_dual_add_f32 v54, v83, v15 :: v_dual_add_f32 v89, v52, v38
	v_sub_f32_e32 v15, v15, v55
	v_dual_add_f32 v7, v26, v7 :: v_dual_fmamk_f32 v26, v12, 0x3f737871, v42
	s_delay_alu instid0(VALU_DEP_3) | instskip(SKIP_3) | instid1(VALU_DEP_3)
	v_add_f32_e32 v54, v54, v55
	v_dual_add_f32 v55, v78, v6 :: v_dual_sub_f32 v44, v44, v11
	v_fma_f32 v77, -0.5, v77, v52
	v_fmac_f32_e32 v52, -0.5, v88
	v_dual_sub_f32 v88, v48, v38 :: v_dual_add_f32 v55, v55, v13
	v_fmac_f32_e32 v26, 0x3f167918, v62
	v_dual_fmac_f32 v42, 0xbf737871, v12 :: v_dual_add_f32 v69, v13, v49
	v_dual_sub_f32 v13, v13, v49 :: v_dual_sub_f32 v14, v14, v59
	s_delay_alu instid0(VALU_DEP_4) | instskip(SKIP_3) | instid1(VALU_DEP_3)
	v_dual_add_f32 v49, v55, v49 :: v_dual_sub_f32 v8, v8, v4
	v_dual_add_f32 v55, v87, v16 :: v_dual_add_f32 v88, v88, v90
	v_sub_f32_e32 v90, v86, v10
	v_sub_f32_e32 v16, v16, v9
	v_dual_fmac_f32 v42, 0xbf167918, v62 :: v_dual_add_f32 v9, v55, v9
	s_delay_alu instid0(VALU_DEP_3) | instskip(SKIP_2) | instid1(VALU_DEP_3)
	v_dual_add_f32 v55, v89, v48 :: v_dual_add_f32 v90, v90, v91
	v_dual_add_f32 v91, v10, v2 :: v_dual_sub_f32 v48, v48, v5
	v_fma_f32 v69, -0.5, v69, v78
	v_add_f32_e32 v5, v55, v5
	v_add_f32_e32 v55, v93, v10
	s_delay_alu instid0(VALU_DEP_4) | instskip(SKIP_2) | instid1(VALU_DEP_4)
	v_fma_f32 v91, -0.5, v91, v61
	v_dual_fmac_f32 v61, -0.5, v92 :: v_dual_sub_f32 v92, v10, v86
	v_sub_f32_e32 v10, v10, v2
	v_dual_add_f32 v2, v55, v2 :: v_dual_fmamk_f32 v55, v62, 0xbf737871, v50
	v_fmac_f32_e32 v50, 0x3f737871, v62
	v_lshl_add_u32 v62, v82, 3, 0
	v_fmamk_f32 v82, v45, 0xbf737871, v57
	v_fmac_f32_e32 v57, 0x3f737871, v45
	v_fmac_f32_e32 v55, 0x3f167918, v12
	;; [unrolled: 1-line block ×3, first 2 shown]
	v_add_f32_e32 v12, v46, v56
	v_fmamk_f32 v46, v40, 0x3f737871, v51
	v_dual_fmac_f32 v51, 0xbf737871, v40 :: v_dual_sub_f32 v38, v38, v3
	v_fmac_f32_e32 v82, 0xbf167918, v40
	v_dual_sub_f32 v56, v86, v27 :: v_dual_fmac_f32 v57, 0x3f167918, v40
	v_add_f32_e32 v40, v6, v1
	v_dual_fmac_f32 v46, 0xbf167918, v45 :: v_dual_add_f32 v11, v47, v11
	v_dual_add_f32 v47, v54, v59 :: v_dual_fmamk_f32 v54, v8, 0x3f737871, v69
	s_delay_alu instid0(VALU_DEP_3)
	v_fma_f32 v78, -0.5, v40, v78
	v_fmac_f32_e32 v51, 0x3f167918, v45
	v_fmamk_f32 v40, v14, 0x3f737871, v70
	v_dual_fmac_f32 v70, 0xbf737871, v14 :: v_dual_fmamk_f32 v45, v15, 0xbf737871, v37
	v_fmac_f32_e32 v37, 0x3f737871, v15
	v_fmamk_f32 v59, v16, 0xbf737871, v78
	s_delay_alu instid0(VALU_DEP_4) | instskip(SKIP_1) | instid1(VALU_DEP_4)
	v_fmac_f32_e32 v40, 0x3f167918, v15
	v_fmac_f32_e32 v78, 0x3f737871, v16
	v_dual_fmac_f32 v70, 0xbf167918, v15 :: v_dual_fmac_f32 v37, 0xbf167918, v14
	v_fmamk_f32 v15, v44, 0xbf737871, v63
	v_fmac_f32_e32 v45, 0x3f167918, v14
	v_fmamk_f32 v14, v41, 0x3f737871, v39
	v_fmac_f32_e32 v39, 0xbf737871, v41
	v_fmac_f32_e32 v63, 0x3f737871, v44
	;; [unrolled: 1-line block ×3, first 2 shown]
	v_dual_fmac_f32 v40, 0x3e9e377a, v71 :: v_dual_fmac_f32 v37, 0x3e9e377a, v80
	v_fmac_f32_e32 v14, 0xbf167918, v44
	v_fmac_f32_e32 v39, 0x3f167918, v44
	v_fmamk_f32 v44, v10, 0xbf737871, v52
	v_dual_fmac_f32 v15, 0xbf167918, v41 :: v_dual_fmac_f32 v78, 0xbf167918, v8
	v_sub_f32_e32 v6, v6, v1
	v_fmamk_f32 v84, v13, 0x3f737871, v79
	v_fmac_f32_e32 v54, 0x3f167918, v16
	v_fmac_f32_e32 v69, 0xbf167918, v16
	v_fmamk_f32 v16, v56, 0x3f737871, v77
	v_dual_fmac_f32 v26, 0x3e9e377a, v43 :: v_dual_fmac_f32 v55, 0x3e9e377a, v58
	v_dual_fmac_f32 v42, 0x3e9e377a, v43 :: v_dual_fmac_f32 v57, 0x3e9e377a, v64
	;; [unrolled: 1-line block ×3, first 2 shown]
	v_mul_f32_e32 v43, 0xbf167918, v40
	v_fmac_f32_e32 v52, 0x3f737871, v10
	v_fmac_f32_e32 v63, 0x3f167918, v41
	v_add_f32_e32 v41, v49, v1
	v_dual_add_f32 v49, v5, v3 :: v_dual_fmac_f32 v16, 0x3f167918, v10
	v_fmac_f32_e32 v44, 0x3f167918, v56
	v_fmac_f32_e32 v43, 0x3f4f1bbd, v15
	v_fmac_f32_e32 v77, 0xbf737871, v56
	v_dual_fmac_f32 v50, 0x3e9e377a, v58 :: v_dual_fmac_f32 v51, 0x3e9e377a, v67
	v_fmac_f32_e32 v16, 0x3e9e377a, v60
	v_fmac_f32_e32 v44, 0x3e9e377a, v88
	s_delay_alu instid0(VALU_DEP_4) | instskip(SKIP_3) | instid1(VALU_DEP_4)
	v_dual_fmac_f32 v77, 0xbf167918, v10 :: v_dual_add_f32 v10, v2, v27
	v_dual_fmac_f32 v46, 0x3e9e377a, v67 :: v_dual_fmac_f32 v45, 0x3e9e377a, v80
	v_mul_f32_e32 v27, 0x3f167918, v15
	v_mul_f32_e32 v58, 0xbf167918, v16
	v_fmac_f32_e32 v77, 0x3e9e377a, v60
	v_mul_f32_e32 v60, 0xbf737871, v44
	v_fmac_f32_e32 v59, 0x3f167918, v8
	v_dual_add_f32 v8, v9, v4 :: v_dual_fmamk_f32 v83, v6, 0xbf737871, v81
	v_fmac_f32_e32 v81, 0x3f737871, v6
	v_dual_fmac_f32 v79, 0xbf737871, v13 :: v_dual_add_f32 v92, v92, v94
	v_dual_fmac_f32 v14, 0x3e9e377a, v53 :: v_dual_sub_f32 v3, v7, v11
	v_fmac_f32_e32 v84, 0xbf167918, v6
	s_delay_alu instid0(VALU_DEP_3)
	v_fmac_f32_e32 v79, 0x3f167918, v6
	v_dual_add_f32 v6, v8, v10 :: v_dual_fmac_f32 v83, 0xbf167918, v13
	v_fmac_f32_e32 v52, 0xbf167918, v56
	v_fmac_f32_e32 v27, 0x3f4f1bbd, v40
	;; [unrolled: 1-line block ×3, first 2 shown]
	v_fmamk_f32 v13, v48, 0x3f737871, v61
	v_dual_fmac_f32 v69, 0x3e9e377a, v65 :: v_dual_fmac_f32 v84, 0x3e9e377a, v68
	v_dual_sub_f32 v4, v12, v47 :: v_dual_fmac_f32 v39, 0x3e9e377a, v53
	v_fmac_f32_e32 v78, 0x3e9e377a, v76
	s_delay_alu instid0(VALU_DEP_4) | instskip(SKIP_2) | instid1(VALU_DEP_3)
	v_fmac_f32_e32 v13, 0xbf167918, v38
	v_dual_fmac_f32 v70, 0x3e9e377a, v71 :: v_dual_fmac_f32 v63, 0x3e9e377a, v66
	v_add_f32_e32 v2, v12, v47
	v_dual_mul_f32 v12, 0x3e9e377a, v39 :: v_dual_fmac_f32 v13, 0x3e9e377a, v92
	v_add_f32_e32 v1, v7, v11
	v_dual_fmac_f32 v83, 0x3e9e377a, v85 :: v_dual_fmac_f32 v52, 0x3e9e377a, v88
	v_sub_f32_e32 v7, v41, v49
	s_delay_alu instid0(VALU_DEP_4)
	v_fmac_f32_e32 v60, 0x3e9e377a, v13
	v_mul_f32_e32 v47, 0xbf737871, v45
	v_mul_f32_e32 v11, 0x3f4f1bbd, v70
	v_mul_f32_e32 v56, 0x3f737871, v13
	v_add_f32_e32 v5, v41, v49
	v_mul_f32_e32 v41, 0x3f4f1bbd, v63
	v_fmac_f32_e32 v47, 0x3e9e377a, v14
	v_fmac_f32_e32 v61, 0xbf737871, v48
	v_fmamk_f32 v9, v38, 0xbf737871, v91
	v_fma_f32 v40, 0x3f167918, v63, -v11
	v_fma_f32 v63, 0xbf167918, v70, -v41
	v_fmac_f32_e32 v91, 0x3f737871, v38
	v_fmac_f32_e32 v61, 0x3f167918, v38
	s_delay_alu instid0(VALU_DEP_4) | instskip(NEXT) | instid1(VALU_DEP_4)
	v_dual_mul_f32 v38, 0x3f737871, v14 :: v_dual_add_f32 v15, v42, v40
	v_dual_sub_f32 v41, v42, v40 :: v_dual_sub_f32 v42, v57, v63
	s_delay_alu instid0(VALU_DEP_2)
	v_dual_fmac_f32 v61, 0x3e9e377a, v92 :: v_dual_fmac_f32 v38, 0x3e9e377a, v45
	v_fma_f32 v45, 0xbf737871, v37, -v12
	v_fmac_f32_e32 v56, 0x3e9e377a, v44
	v_sub_f32_e32 v8, v8, v10
	v_mul_f32_e32 v10, 0x3e9e377a, v37
	v_mul_f32_e32 v49, 0x3f4f1bbd, v77
	v_dual_add_f32 v14, v51, v45 :: v_dual_fmac_f32 v9, 0xbf167918, v48
	v_mul_f32_e32 v64, 0x3e9e377a, v61
	v_sub_f32_e32 v40, v51, v45
	v_dual_fmac_f32 v54, 0x3e9e377a, v65 :: v_dual_fmac_f32 v79, 0x3e9e377a, v68
	s_delay_alu instid0(VALU_DEP_4) | instskip(SKIP_3) | instid1(VALU_DEP_4)
	v_fmac_f32_e32 v9, 0x3e9e377a, v90
	v_fma_f32 v39, 0x3f737871, v39, -v10
	v_add_f32_e32 v10, v82, v43
	v_dual_add_f32 v12, v46, v47 :: v_dual_fmac_f32 v59, 0x3e9e377a, v76
	v_mul_f32_e32 v53, 0x3f167918, v9
	v_dual_fmac_f32 v58, 0x3f4f1bbd, v9 :: v_dual_add_f32 v9, v26, v27
	v_dual_sub_f32 v26, v26, v27 :: v_dual_fmac_f32 v81, 0x3e9e377a, v85
	s_delay_alu instid0(VALU_DEP_3) | instskip(NEXT) | instid1(VALU_DEP_3)
	v_dual_fmac_f32 v53, 0x3f4f1bbd, v16 :: v_dual_add_f32 v16, v57, v63
	v_dual_fmac_f32 v91, 0x3f167918, v48 :: v_dual_add_f32 v44, v83, v58
	v_mul_f32_e32 v48, 0x3e9e377a, v52
	v_fma_f32 v64, 0xbf737871, v52, -v64
	v_add_f32_e32 v11, v55, v38
	s_delay_alu instid0(VALU_DEP_4)
	v_fmac_f32_e32 v91, 0x3e9e377a, v90
	v_add_f32_e32 v13, v50, v39
	v_fma_f32 v61, 0x3f737871, v61, -v48
	v_sub_f32_e32 v37, v55, v38
	v_sub_f32_e32 v27, v82, v43
	v_mul_f32_e32 v65, 0x3f4f1bbd, v91
	v_fma_f32 v66, 0x3f167918, v91, -v49
	v_sub_f32_e32 v38, v46, v47
	v_sub_f32_e32 v39, v50, v39
	v_add_f32_e32 v43, v54, v53
	v_fma_f32 v65, 0xbf167918, v77, -v65
	v_add_f32_e32 v45, v59, v56
	v_add_f32_e32 v47, v78, v61
	v_dual_add_f32 v49, v69, v66 :: v_dual_add_f32 v46, v84, v60
	v_add_f32_e32 v48, v79, v64
	v_add_f32_e32 v50, v81, v65
	v_sub_f32_e32 v51, v54, v53
	v_sub_f32_e32 v53, v59, v56
	;; [unrolled: 1-line block ×8, first 2 shown]
	ds_store_2addr_stride64_b64 v62, v[1:2], v[9:10] offset1:1
	ds_store_2addr_stride64_b64 v62, v[11:12], v[13:14] offset0:2 offset1:3
	ds_store_2addr_stride64_b64 v62, v[15:16], v[3:4] offset0:4 offset1:5
	;; [unrolled: 1-line block ×4, first 2 shown]
	ds_store_2addr_stride64_b64 v24, v[5:6], v[43:44] offset1:1
	ds_store_2addr_stride64_b64 v24, v[45:46], v[47:48] offset0:2 offset1:3
	ds_store_2addr_stride64_b64 v24, v[49:50], v[7:8] offset0:4 offset1:5
	;; [unrolled: 1-line block ×4, first 2 shown]
	v_mul_u32_u24_e32 v1, 3, v0
	v_mul_i32_i24_e32 v24, 3, v22
	global_wb scope:SCOPE_SE
	s_wait_dscnt 0x0
	s_barrier_signal -1
	s_barrier_wait -1
	v_lshlrev_b32_e32 v9, 3, v1
	v_lshlrev_b64_e32 v[13:14], 3, v[24:25]
	v_mul_i32_i24_e32 v24, 3, v19
	global_inv scope:SCOPE_SE
	s_clause 0x3
	global_load_b64 v[26:27], v[72:73], off offset:5104
	global_load_b64 v[76:77], v[74:75], off offset:5104
	global_load_b128 v[1:4], v9, s[4:5] offset:5088
	global_load_b64 v[78:79], v9, s[4:5] offset:5104
	v_add_co_u32 v37, s0, s4, v13
	v_lshlrev_b64_e32 v[39:40], 3, v[24:25]
	global_load_b128 v[9:12], v[74:75], off offset:5088
	s_wait_alu 0xf1ff
	v_add_co_ci_u32_e64 v38, s0, s5, v14, s0
	global_load_b128 v[5:8], v[72:73], off offset:5088
	v_add_co_u32 v41, s0, s4, v39
	global_load_b128 v[13:16], v[37:38], off offset:5088
	s_wait_alu 0xf1ff
	v_add_co_ci_u32_e64 v42, s0, s5, v40, s0
	s_clause 0x2
	global_load_b64 v[73:74], v[37:38], off offset:5104
	global_load_b128 v[37:40], v[41:42], off offset:5088
	global_load_b64 v[80:81], v[41:42], off offset:5104
	ds_load_2addr_stride64_b64 v[41:44], v28 offset0:32 offset1:34
	ds_load_2addr_stride64_b64 v[45:48], v28 offset1:10
	ds_load_2addr_stride64_b64 v[49:52], v28 offset0:20 offset1:22
	ds_load_2addr_stride64_b64 v[53:56], v28 offset0:28 offset1:30
	;; [unrolled: 1-line block ×6, first 2 shown]
	v_cmp_ne_u32_e64 s0, 0, v0
	s_wait_loadcnt_dscnt 0x907
	v_mul_f32_e32 v24, v42, v27
	s_wait_loadcnt_dscnt 0x705
	v_dual_mul_f32 v82, v41, v27 :: v_dual_mul_f32 v85, v4, v50
	v_mul_f32_e32 v4, v4, v49
	v_mul_f32_e32 v84, v2, v48
	v_dual_mul_f32 v2, v2, v47 :: v_dual_mul_f32 v27, v44, v77
	v_mul_f32_e32 v77, v43, v77
	s_delay_alu instid0(VALU_DEP_4)
	v_fmac_f32_e32 v4, v3, v50
	s_wait_loadcnt_dscnt 0x503
	v_mul_f32_e32 v50, v60, v10
	v_mul_f32_e32 v10, v59, v10
	v_fma_f32 v47, v1, v47, -v84
	v_fmac_f32_e32 v2, v1, v48
	v_fma_f32 v1, v3, v49, -v85
	v_fma_f32 v50, v59, v9, -v50
	v_fmac_f32_e32 v10, v60, v9
	s_wait_loadcnt_dscnt 0x302
	v_mul_f32_e32 v9, v64, v16
	v_dual_mul_f32 v16, v63, v16 :: v_dual_mul_f32 v49, v6, v58
	v_mul_f32_e32 v6, v6, v57
	v_fma_f32 v24, v41, v26, -v24
	v_fmac_f32_e32 v82, v42, v26
	s_delay_alu instid0(VALU_DEP_4)
	v_fmac_f32_e32 v16, v64, v15
	v_mul_f32_e32 v48, v79, v56
	v_fmac_f32_e32 v6, v5, v58
	s_wait_loadcnt 0x1
	v_mul_f32_e32 v58, v54, v40
	v_fma_f32 v83, v43, v76, -v27
	v_mul_f32_e32 v40, v53, v40
	v_fmac_f32_e32 v77, v44, v76
	ds_load_b64 v[26:27], v36
	ds_load_b64 v[41:42], v35
	;; [unrolled: 1-line block ×4, first 2 shown]
	v_mul_f32_e32 v3, v52, v8
	v_mul_f32_e32 v8, v51, v8
	v_fmac_f32_e32 v40, v54, v39
	v_fma_f32 v49, v5, v57, -v49
	v_fma_f32 v9, v63, v15, -v9
	;; [unrolled: 1-line block ×3, first 2 shown]
	v_fmac_f32_e32 v8, v52, v7
	v_fma_f32 v3, v51, v7, -v3
	v_fma_f32 v48, v78, v55, -v48
	s_wait_dscnt 0x4
	v_mul_f32_e32 v52, v70, v74
	v_mul_f32_e32 v57, v69, v74
	v_sub_f32_e32 v39, v45, v1
	global_wb scope:SCOPE_SE
	s_wait_loadcnt_dscnt 0x0
	s_barrier_signal -1
	s_barrier_wait -1
	global_inv scope:SCOPE_SE
	v_sub_f32_e32 v53, v27, v8
	v_mul_f32_e32 v5, v62, v12
	v_mul_f32_e32 v12, v61, v12
	v_sub_f32_e32 v58, v44, v16
	v_sub_f32_e32 v8, v50, v83
	s_delay_alu instid0(VALU_DEP_4) | instskip(NEXT) | instid1(VALU_DEP_4)
	v_fma_f32 v5, v61, v11, -v5
	v_dual_fmac_f32 v12, v62, v11 :: v_dual_mul_f32 v11, v68, v38
	v_mul_f32_e32 v38, v67, v38
	v_mul_f32_e32 v7, v79, v55
	s_delay_alu instid0(VALU_DEP_3) | instskip(NEXT) | instid1(VALU_DEP_2)
	v_dual_mul_f32 v55, v72, v81 :: v_dual_sub_f32 v54, v42, v12
	v_dual_fmac_f32 v38, v68, v37 :: v_dual_fmac_f32 v7, v78, v56
	v_dual_mul_f32 v56, v71, v81 :: v_dual_mul_f32 v51, v66, v14
	v_mul_f32_e32 v14, v65, v14
	s_delay_alu instid0(VALU_DEP_4) | instskip(NEXT) | instid1(VALU_DEP_3)
	v_fma_f32 v64, v42, 2.0, -v54
	v_fmac_f32_e32 v56, v72, v80
	s_delay_alu instid0(VALU_DEP_4) | instskip(NEXT) | instid1(VALU_DEP_4)
	v_fma_f32 v51, v65, v13, -v51
	v_fmac_f32_e32 v14, v66, v13
	v_fma_f32 v13, v69, v73, -v52
	v_sub_f32_e32 v52, v46, v4
	v_dual_fmac_f32 v57, v70, v73 :: v_dual_sub_f32 v4, v47, v48
	v_fma_f32 v11, v67, v37, -v11
	v_fma_f32 v37, v71, v80, -v55
	v_sub_f32_e32 v1, v2, v7
	v_sub_f32_e32 v55, v43, v9
	;; [unrolled: 1-line block ×3, first 2 shown]
	v_fma_f32 v60, v46, 2.0, -v52
	v_fma_f32 v62, v27, 2.0, -v53
	v_sub_f32_e32 v9, v51, v13
	v_sub_f32_e32 v13, v11, v37
	v_fma_f32 v37, v2, 2.0, -v1
	v_sub_f32_e32 v57, v75, v15
	v_sub_f32_e32 v15, v38, v56
	v_fma_f32 v66, v44, 2.0, -v58
	v_dual_sub_f32 v59, v76, v40 :: v_dual_sub_f32 v48, v26, v3
	v_sub_f32_e32 v7, v49, v24
	v_dual_sub_f32 v3, v6, v82 :: v_dual_sub_f32 v24, v41, v5
	s_delay_alu instid0(VALU_DEP_3)
	v_fma_f32 v68, v76, 2.0, -v59
	v_fma_f32 v46, v38, 2.0, -v15
	v_sub_f32_e32 v5, v10, v77
	v_fma_f32 v56, v45, 2.0, -v39
	v_fma_f32 v16, v47, 2.0, -v4
	;; [unrolled: 1-line block ×3, first 2 shown]
	v_sub_f32_e32 v46, v68, v46
	v_fma_f32 v41, v10, 2.0, -v5
	v_add_f32_e32 v10, v59, v13
	v_fma_f32 v27, v6, 2.0, -v3
	v_fma_f32 v61, v26, 2.0, -v48
	;; [unrolled: 1-line block ×3, first 2 shown]
	v_add_f32_e32 v6, v54, v8
	v_fma_f32 v45, v11, 2.0, -v13
	v_dual_sub_f32 v11, v56, v16 :: v_dual_sub_f32 v16, v62, v27
	v_add_f32_e32 v8, v58, v9
	v_fma_f32 v26, v49, 2.0, -v7
	v_add_f32_e32 v2, v52, v4
	v_add_f32_e32 v4, v53, v7
	v_fma_f32 v65, v43, 2.0, -v55
	v_fma_f32 v42, v51, 2.0, -v9
	;; [unrolled: 1-line block ×3, first 2 shown]
	v_dual_sub_f32 v7, v55, v12 :: v_dual_sub_f32 v12, v60, v37
	v_fma_f32 v67, v75, 2.0, -v57
	v_sub_f32_e32 v1, v39, v1
	v_sub_f32_e32 v3, v48, v3
	v_dual_sub_f32 v38, v64, v41 :: v_dual_sub_f32 v9, v57, v15
	v_sub_f32_e32 v15, v61, v26
	v_sub_f32_e32 v5, v24, v5
	;; [unrolled: 1-line block ×3, first 2 shown]
	v_dual_sub_f32 v41, v65, v42 :: v_dual_sub_f32 v42, v66, v43
	v_sub_f32_e32 v45, v67, v45
	v_fma_f32 v13, v39, 2.0, -v1
	v_fma_f32 v14, v52, 2.0, -v2
	;; [unrolled: 1-line block ×20, first 2 shown]
	ds_store_2addr_stride64_b64 v28, v[11:12], v[1:2] offset0:20 offset1:30
	ds_store_2addr_stride64_b64 v28, v[49:50], v[13:14] offset1:10
	ds_store_2addr_stride64_b64 v36, v[51:52], v[26:27] offset1:10
	ds_store_2addr_stride64_b64 v36, v[15:16], v[3:4] offset0:20 offset1:30
	ds_store_2addr_stride64_b64 v35, v[53:54], v[39:40] offset1:10
	ds_store_2addr_stride64_b64 v35, v[37:38], v[5:6] offset0:20 offset1:30
	ds_store_2addr_stride64_b64 v34, v[55:56], v[43:44] offset1:10
	ds_store_2addr_stride64_b64 v34, v[41:42], v[7:8] offset0:20 offset1:30
	ds_store_2addr_stride64_b64 v33, v[57:58], v[47:48] offset1:10
	ds_store_2addr_stride64_b64 v33, v[45:46], v[9:10] offset0:20 offset1:30
	global_wb scope:SCOPE_SE
	s_wait_dscnt 0x0
	s_barrier_signal -1
	s_barrier_wait -1
	global_inv scope:SCOPE_SE
	ds_load_b64 v[5:6], v28
	v_sub_nc_u32_e32 v7, 0, v21
                                        ; implicit-def: $vgpr3
                                        ; implicit-def: $vgpr10
                                        ; implicit-def: $vgpr12
                                        ; implicit-def: $vgpr1_vgpr2
	s_and_saveexec_b32 s1, s0
	s_wait_alu 0xfffe
	s_xor_b32 s0, exec_lo, s1
	s_cbranch_execz .LBB0_15
; %bb.14:
	global_load_b64 v[2:3], v21, s[4:5] offset:20448
	ds_load_b64 v[8:9], v7 offset:20480
	s_wait_dscnt 0x0
	v_sub_f32_e32 v1, v5, v8
	v_add_f32_e32 v4, v9, v6
	v_sub_f32_e32 v6, v6, v9
	s_delay_alu instid0(VALU_DEP_3) | instskip(NEXT) | instid1(VALU_DEP_3)
	v_mul_f32_e32 v9, 0.5, v1
	v_dual_mul_f32 v11, 0.5, v4 :: v_dual_add_f32 v4, v8, v5
	s_wait_loadcnt 0x0
	s_delay_alu instid0(VALU_DEP_2) | instskip(NEXT) | instid1(VALU_DEP_1)
	v_mul_f32_e32 v5, v3, v9
	v_fma_f32 v10, 0.5, v4, v5
	v_mul_f32_e32 v1, 0.5, v6
	v_fma_f32 v5, v4, 0.5, -v5
	s_delay_alu instid0(VALU_DEP_3) | instskip(NEXT) | instid1(VALU_DEP_3)
	v_fmac_f32_e32 v10, v2, v11
	v_fma_f32 v6, v11, v3, v1
	v_fma_f32 v3, v11, v3, -v1
	v_mov_b32_e32 v1, v25
	s_delay_alu instid0(VALU_DEP_3) | instskip(NEXT) | instid1(VALU_DEP_3)
	v_fma_f32 v12, -v2, v9, v6
	v_fma_f32 v4, -v2, v9, v3
	;; [unrolled: 1-line block ×3, first 2 shown]
	s_delay_alu instid0(VALU_DEP_4)
	v_mov_b32_e32 v2, v1
	v_mov_b32_e32 v1, v0
                                        ; implicit-def: $vgpr5_vgpr6
.LBB0_15:
	s_wait_alu 0xfffe
	s_or_saveexec_b32 s0, s0
	v_mul_i32_i24_e32 v13, 0xffffffe8, v20
	v_mul_i32_i24_e32 v11, 0xffffffe8, v23
	;; [unrolled: 1-line block ×4, first 2 shown]
	s_wait_alu 0xfffe
	s_xor_b32 exec_lo, exec_lo, s0
	s_cbranch_execz .LBB0_17
; %bb.16:
	s_wait_dscnt 0x0
	v_dual_mov_b32 v12, 0 :: v_dual_sub_f32 v3, v5, v6
	v_add_f32_e32 v10, v5, v6
	v_mov_b32_e32 v4, 0
	ds_load_b32 v1, v12 offset:10244
	s_wait_dscnt 0x0
	v_xor_b32_e32 v5, 0x80000000, v1
	v_mov_b32_e32 v1, 0
	v_mov_b32_e32 v2, 0
	ds_store_b32 v12, v5 offset:10244
.LBB0_17:
	s_or_b32 exec_lo, exec_lo, s0
	v_mov_b32_e32 v21, 0
	v_lshlrev_b64_e32 v[1:2], 3, v[1:2]
	v_add_nc_u32_e32 v9, v32, v9
	s_wait_dscnt 0x0
	s_delay_alu instid0(VALU_DEP_3) | instskip(SKIP_2) | instid1(VALU_DEP_3)
	v_lshlrev_b64_e32 v[5:6], 3, v[20:21]
	v_mov_b32_e32 v24, v21
	v_mov_b32_e32 v20, v21
	v_add_co_u32 v5, s0, s4, v5
	s_wait_alu 0xf1ff
	s_delay_alu instid0(VALU_DEP_4) | instskip(SKIP_3) | instid1(VALU_DEP_2)
	v_add_co_ci_u32_e64 v6, s0, s5, v6, s0
	global_load_b64 v[14:15], v[5:6], off offset:20448
	v_lshlrev_b64_e32 v[5:6], 3, v[23:24]
	v_mov_b32_e32 v23, v21
	v_add_co_u32 v5, s0, s4, v5
	s_wait_alu 0xf1ff
	s_delay_alu instid0(VALU_DEP_3) | instskip(SKIP_2) | instid1(VALU_DEP_1)
	v_add_co_ci_u32_e64 v6, s0, s5, v6, s0
	global_load_b64 v[24:25], v[5:6], off offset:20448
	v_lshlrev_b64_e32 v[5:6], 3, v[22:23]
	v_add_co_u32 v5, s0, s4, v5
	s_wait_alu 0xf1ff
	s_delay_alu instid0(VALU_DEP_2) | instskip(SKIP_2) | instid1(VALU_DEP_1)
	v_add_co_ci_u32_e64 v6, s0, s5, v6, s0
	global_load_b64 v[22:23], v[5:6], off offset:20448
	v_lshlrev_b64_e32 v[5:6], 3, v[19:20]
	v_add_co_u32 v5, s0, s4, v5
	s_wait_alu 0xf1ff
	s_delay_alu instid0(VALU_DEP_2)
	v_add_co_ci_u32_e64 v6, s0, s5, v6, s0
	s_add_nc_u64 s[0:1], s[4:5], 0x4fe0
	s_wait_alu 0xfffe
	v_add_co_u32 v26, s0, s0, v1
	global_load_b64 v[19:20], v[5:6], off offset:20448
	s_wait_alu 0xf1ff
	v_add_co_ci_u32_e64 v27, s0, s1, v2, s0
	s_clause 0x1
	global_load_b64 v[33:34], v[26:27], off offset:5120
	global_load_b64 v[35:36], v[26:27], off offset:6144
	v_or_b32_e32 v5, 0x380, v0
	v_add_nc_u32_e32 v6, v31, v13
	ds_store_2addr_b32 v28, v10, v12 offset1:1
	ds_store_b64 v7, v[3:4] offset:20480
	v_lshlrev_b32_e32 v5, 3, v5
	global_load_b64 v[3:4], v5, s[4:5] offset:20448
	ds_load_b64 v[12:13], v6
	ds_load_b64 v[37:38], v7 offset:19456
	s_wait_dscnt 0x0
	v_sub_f32_e32 v10, v12, v37
	v_add_f32_e32 v16, v13, v38
	v_sub_f32_e32 v13, v13, v38
	s_delay_alu instid0(VALU_DEP_1) | instskip(SKIP_1) | instid1(VALU_DEP_1)
	v_dual_mul_f32 v10, 0.5, v10 :: v_dual_mul_f32 v13, 0.5, v13
	s_wait_loadcnt 0x6
	v_dual_mul_f32 v16, 0.5, v16 :: v_dual_mul_f32 v21, v15, v10
	v_add_f32_e32 v12, v12, v37
	s_delay_alu instid0(VALU_DEP_2) | instskip(SKIP_1) | instid1(VALU_DEP_3)
	v_fma_f32 v31, v16, v15, v13
	v_fma_f32 v13, v16, v15, -v13
	v_fma_f32 v15, 0.5, v12, v21
	s_delay_alu instid0(VALU_DEP_1)
	v_fmac_f32_e32 v15, v14, v16
	v_fma_f32 v12, v12, 0.5, -v21
	v_add_nc_u32_e32 v21, v30, v11
	v_fma_f32 v30, -v14, v10, v31
	v_fma_f32 v13, -v14, v10, v13
	global_load_b64 v[10:11], v[26:27], off offset:8192
	v_fma_f32 v12, -v14, v16, v12
	ds_store_b32 v6, v30 offset:4
	ds_store_b32 v7, v13 offset:19460
	ds_store_b32 v6, v15
	ds_store_b32 v7, v12 offset:19456
	ds_load_b64 v[12:13], v21
	ds_load_b64 v[14:15], v7 offset:18432
	s_wait_dscnt 0x0
	v_sub_f32_e32 v6, v12, v14
	v_add_f32_e32 v16, v13, v15
	v_dual_sub_f32 v13, v13, v15 :: v_dual_add_f32 v12, v12, v14
	s_delay_alu instid0(VALU_DEP_1) | instskip(SKIP_1) | instid1(VALU_DEP_1)
	v_dual_mul_f32 v13, 0.5, v13 :: v_dual_mul_f32 v6, 0.5, v6
	s_wait_loadcnt 0x6
	v_dual_mul_f32 v15, 0.5, v16 :: v_dual_mul_f32 v14, v25, v6
	s_delay_alu instid0(VALU_DEP_1) | instskip(SKIP_1) | instid1(VALU_DEP_3)
	v_fma_f32 v16, v15, v25, v13
	v_fma_f32 v13, v15, v25, -v13
	v_fma_f32 v25, 0.5, v12, v14
	v_fma_f32 v12, v12, 0.5, -v14
	s_delay_alu instid0(VALU_DEP_4) | instskip(NEXT) | instid1(VALU_DEP_4)
	v_fma_f32 v14, -v24, v6, v16
	v_fma_f32 v6, -v24, v6, v13
	s_delay_alu instid0(VALU_DEP_4) | instskip(NEXT) | instid1(VALU_DEP_4)
	v_fmac_f32_e32 v25, v24, v15
	v_fma_f32 v15, -v24, v15, v12
	global_load_b64 v[12:13], v[26:27], off offset:9216
	ds_store_b32 v21, v14 offset:4
	ds_store_b32 v7, v6 offset:18436
	ds_store_b32 v21, v25
	ds_store_b32 v7, v15 offset:18432
	ds_load_b64 v[14:15], v9
	ds_load_b64 v[24:25], v7 offset:17408
	s_wait_dscnt 0x0
	v_sub_f32_e32 v6, v14, v24
	v_add_f32_e32 v16, v15, v25
	v_dual_sub_f32 v15, v15, v25 :: v_dual_add_f32 v14, v14, v24
	s_delay_alu instid0(VALU_DEP_1) | instskip(NEXT) | instid1(VALU_DEP_4)
	v_dual_mul_f32 v15, 0.5, v15 :: v_dual_mul_f32 v16, 0.5, v16
	v_mul_f32_e32 v6, 0.5, v6
	s_wait_loadcnt 0x6
	s_delay_alu instid0(VALU_DEP_1) | instskip(NEXT) | instid1(VALU_DEP_3)
	v_mul_f32_e32 v21, v23, v6
	v_fma_f32 v24, v16, v23, v15
	v_fma_f32 v15, v16, v23, -v15
	s_delay_alu instid0(VALU_DEP_3) | instskip(SKIP_1) | instid1(VALU_DEP_2)
	v_fma_f32 v23, 0.5, v14, v21
	v_fma_f32 v14, v14, 0.5, -v21
	v_fmac_f32_e32 v23, v22, v16
	v_fma_f32 v21, -v22, v6, v24
	v_fma_f32 v6, -v22, v6, v15
	s_delay_alu instid0(VALU_DEP_4)
	v_fma_f32 v14, -v22, v16, v14
	v_add_nc_u32_e32 v16, v29, v8
	ds_store_b32 v9, v21 offset:4
	ds_store_b32 v7, v6 offset:17412
	ds_store_b32 v9, v23
	ds_store_b32 v7, v14 offset:17408
	ds_load_b64 v[8:9], v16
	ds_load_b64 v[14:15], v7 offset:16384
	s_wait_dscnt 0x0
	v_dual_sub_f32 v6, v8, v14 :: v_dual_add_f32 v21, v9, v15
	v_dual_sub_f32 v9, v9, v15 :: v_dual_add_f32 v8, v8, v14
	s_delay_alu instid0(VALU_DEP_2) | instskip(SKIP_1) | instid1(VALU_DEP_1)
	v_dual_mul_f32 v6, 0.5, v6 :: v_dual_mul_f32 v15, 0.5, v21
	s_wait_loadcnt 0x5
	v_dual_mul_f32 v9, 0.5, v9 :: v_dual_mul_f32 v14, v20, v6
	s_delay_alu instid0(VALU_DEP_1) | instskip(SKIP_1) | instid1(VALU_DEP_3)
	v_fma_f32 v21, v15, v20, v9
	v_fma_f32 v9, v15, v20, -v9
	v_fma_f32 v20, 0.5, v8, v14
	v_fma_f32 v8, v8, 0.5, -v14
	s_delay_alu instid0(VALU_DEP_4) | instskip(NEXT) | instid1(VALU_DEP_4)
	v_fma_f32 v14, -v19, v6, v21
	v_fma_f32 v6, -v19, v6, v9
	s_delay_alu instid0(VALU_DEP_4) | instskip(NEXT) | instid1(VALU_DEP_4)
	v_fmac_f32_e32 v20, v19, v15
	v_fma_f32 v8, -v19, v15, v8
	ds_store_b32 v16, v14 offset:4
	ds_store_b32 v7, v6 offset:16388
	ds_store_b32 v16, v20
	ds_store_b32 v7, v8 offset:16384
	ds_load_b64 v[8:9], v28 offset:5120
	ds_load_b64 v[14:15], v7 offset:15360
	s_wait_dscnt 0x0
	v_add_f32_e32 v16, v9, v15
	v_sub_f32_e32 v9, v9, v15
	s_delay_alu instid0(VALU_DEP_2) | instskip(NEXT) | instid1(VALU_DEP_2)
	v_dual_mul_f32 v15, 0.5, v16 :: v_dual_sub_f32 v6, v8, v14
	v_dual_mul_f32 v9, 0.5, v9 :: v_dual_add_f32 v8, v8, v14
	s_delay_alu instid0(VALU_DEP_2) | instskip(SKIP_1) | instid1(VALU_DEP_2)
	v_mul_f32_e32 v6, 0.5, v6
	s_wait_loadcnt 0x4
	v_fma_f32 v16, v15, v34, v9
	v_fma_f32 v9, v15, v34, -v9
	s_delay_alu instid0(VALU_DEP_3) | instskip(NEXT) | instid1(VALU_DEP_3)
	v_mul_f32_e32 v14, v34, v6
	v_fma_f32 v16, -v33, v6, v16
	s_delay_alu instid0(VALU_DEP_3) | instskip(NEXT) | instid1(VALU_DEP_3)
	v_fma_f32 v9, -v33, v6, v9
	v_fma_f32 v19, 0.5, v8, v14
	v_fma_f32 v8, v8, 0.5, -v14
	s_delay_alu instid0(VALU_DEP_2) | instskip(NEXT) | instid1(VALU_DEP_2)
	v_dual_fmac_f32 v19, v33, v15 :: v_dual_add_nc_u32 v14, 0x1400, v28
	v_fma_f32 v8, -v33, v15, v8
	ds_store_2addr_b32 v14, v19, v16 offset1:1
	ds_store_b64 v7, v[8:9] offset:15360
	ds_load_b64 v[8:9], v28 offset:6144
	ds_load_b64 v[14:15], v7 offset:14336
	s_wait_dscnt 0x0
	v_sub_f32_e32 v6, v8, v14
	v_add_f32_e32 v16, v9, v15
	v_dual_sub_f32 v9, v9, v15 :: v_dual_add_f32 v8, v8, v14
	s_delay_alu instid0(VALU_DEP_2) | instskip(SKIP_1) | instid1(VALU_DEP_1)
	v_dual_mul_f32 v6, 0.5, v6 :: v_dual_mul_f32 v15, 0.5, v16
	s_wait_loadcnt 0x3
	v_dual_mul_f32 v9, 0.5, v9 :: v_dual_mul_f32 v14, v36, v6
	s_delay_alu instid0(VALU_DEP_1) | instskip(SKIP_1) | instid1(VALU_DEP_3)
	v_fma_f32 v16, v15, v36, v9
	v_fma_f32 v9, v15, v36, -v9
	v_fma_f32 v19, 0.5, v8, v14
	v_fma_f32 v8, v8, 0.5, -v14
	v_add_nc_u32_e32 v14, 0x1800, v28
	v_fma_f32 v16, -v35, v6, v16
	v_fma_f32 v9, -v35, v6, v9
	v_fmac_f32_e32 v19, v35, v15
	v_fma_f32 v8, -v35, v15, v8
	v_add_nc_u32_e32 v6, 0, v5
	ds_store_2addr_b32 v14, v19, v16 offset1:1
	ds_store_b64 v7, v[8:9] offset:14336
	ds_load_b64 v[8:9], v6
	ds_load_b64 v[14:15], v7 offset:13312
	s_wait_dscnt 0x0
	v_dual_sub_f32 v16, v8, v14 :: v_dual_add_f32 v19, v9, v15
	v_dual_sub_f32 v9, v9, v15 :: v_dual_add_f32 v8, v8, v14
	s_delay_alu instid0(VALU_DEP_2) | instskip(SKIP_1) | instid1(VALU_DEP_1)
	v_dual_mul_f32 v15, 0.5, v16 :: v_dual_mul_f32 v16, 0.5, v19
	s_wait_loadcnt 0x2
	v_dual_mul_f32 v9, 0.5, v9 :: v_dual_mul_f32 v14, v4, v15
	s_delay_alu instid0(VALU_DEP_1) | instskip(SKIP_1) | instid1(VALU_DEP_3)
	v_fma_f32 v19, v16, v4, v9
	v_fma_f32 v4, v16, v4, -v9
	v_fma_f32 v9, 0.5, v8, v14
	v_fma_f32 v8, v8, 0.5, -v14
	s_delay_alu instid0(VALU_DEP_4) | instskip(NEXT) | instid1(VALU_DEP_4)
	v_fma_f32 v14, -v3, v15, v19
	v_fma_f32 v4, -v3, v15, v4
	s_delay_alu instid0(VALU_DEP_4) | instskip(NEXT) | instid1(VALU_DEP_4)
	v_fmac_f32_e32 v9, v3, v16
	v_fma_f32 v3, -v3, v16, v8
	ds_store_2addr_b32 v6, v9, v14 offset1:1
	ds_store_b64 v7, v[3:4] offset:13312
	ds_load_b64 v[3:4], v28 offset:8192
	ds_load_b64 v[8:9], v7 offset:12288
	s_wait_dscnt 0x0
	v_dual_sub_f32 v14, v3, v8 :: v_dual_add_f32 v15, v4, v9
	v_dual_sub_f32 v4, v4, v9 :: v_dual_add_f32 v3, v3, v8
	s_delay_alu instid0(VALU_DEP_2) | instskip(NEXT) | instid1(VALU_DEP_2)
	v_dual_mul_f32 v9, 0.5, v14 :: v_dual_mul_f32 v14, 0.5, v15
	v_mul_f32_e32 v4, 0.5, v4
	s_wait_loadcnt 0x1
	s_delay_alu instid0(VALU_DEP_2) | instskip(NEXT) | instid1(VALU_DEP_2)
	v_mul_f32_e32 v8, v11, v9
	v_fma_f32 v15, v14, v11, v4
	v_fma_f32 v4, v14, v11, -v4
	s_delay_alu instid0(VALU_DEP_3)
	v_fma_f32 v11, 0.5, v3, v8
	v_fma_f32 v3, v3, 0.5, -v8
	v_add_nc_u32_e32 v8, 0x2000, v28
	v_fma_f32 v15, -v10, v9, v15
	v_fma_f32 v4, -v10, v9, v4
	v_fmac_f32_e32 v11, v10, v14
	v_fma_f32 v3, -v10, v14, v3
	ds_store_2addr_b32 v8, v11, v15 offset1:1
	ds_store_b64 v7, v[3:4] offset:12288
	ds_load_b64 v[3:4], v28 offset:9216
	ds_load_b64 v[8:9], v7 offset:11264
	s_wait_dscnt 0x0
	v_dual_sub_f32 v10, v3, v8 :: v_dual_add_f32 v11, v4, v9
	v_dual_sub_f32 v4, v4, v9 :: v_dual_add_f32 v3, v3, v8
	s_delay_alu instid0(VALU_DEP_2) | instskip(NEXT) | instid1(VALU_DEP_2)
	v_dual_mul_f32 v9, 0.5, v10 :: v_dual_mul_f32 v10, 0.5, v11
	v_mul_f32_e32 v4, 0.5, v4
	s_wait_loadcnt 0x0
	s_delay_alu instid0(VALU_DEP_2) | instskip(NEXT) | instid1(VALU_DEP_2)
	v_mul_f32_e32 v8, v13, v9
	v_fma_f32 v11, v10, v13, v4
	v_fma_f32 v4, v10, v13, -v4
	s_delay_alu instid0(VALU_DEP_3)
	v_fma_f32 v13, 0.5, v3, v8
	v_fma_f32 v3, v3, 0.5, -v8
	v_add_nc_u32_e32 v8, 0x2400, v28
	v_fma_f32 v11, -v12, v9, v11
	v_fma_f32 v4, -v12, v9, v4
	v_fmac_f32_e32 v13, v12, v10
	v_fma_f32 v3, -v12, v10, v3
	ds_store_2addr_b32 v8, v13, v11 offset1:1
	ds_store_b64 v7, v[3:4] offset:11264
	global_wb scope:SCOPE_SE
	s_wait_dscnt 0x0
	s_barrier_signal -1
	s_barrier_wait -1
	global_inv scope:SCOPE_SE
	s_and_saveexec_b32 s0, vcc_lo
	s_cbranch_execz .LBB0_20
; %bb.18:
	ds_load_2addr_stride64_b64 v[7:10], v28 offset1:2
	ds_load_2addr_stride64_b64 v[11:14], v28 offset0:4 offset1:6
	v_add_co_u32 v3, vcc_lo, s8, v17
	s_wait_alu 0xfffd
	v_add_co_ci_u32_e32 v4, vcc_lo, s9, v18, vcc_lo
	v_lshl_or_b32 v27, v0, 3, 0x3c00
	s_delay_alu instid0(VALU_DEP_3)
	v_add_co_u32 v1, vcc_lo, v3, v1
	ds_load_2addr_stride64_b64 v[15:18], v28 offset0:8 offset1:10
	ds_load_2addr_stride64_b64 v[19:22], v28 offset0:12 offset1:16
	ds_load_b64 v[37:38], v6
	s_wait_alu 0xfffd
	v_add_co_ci_u32_e32 v2, vcc_lo, v4, v2, vcc_lo
	v_add_nc_u32_e32 v33, 0, v27
	ds_load_2addr_stride64_b64 v[23:26], v28 offset0:18 offset1:20
	ds_load_2addr_stride64_b64 v[29:32], v28 offset0:22 offset1:24
	v_add_co_u32 v41, vcc_lo, v3, v5
	s_wait_alu 0xfffd
	v_add_co_ci_u32_e32 v42, vcc_lo, 0, v4, vcc_lo
	s_wait_dscnt 0x6
	s_clause 0x1
	global_store_b64 v[1:2], v[7:8], off
	global_store_b64 v[1:2], v[9:10], off offset:1024
	s_wait_dscnt 0x5
	s_clause 0x1
	global_store_b64 v[1:2], v[11:12], off offset:2048
	global_store_b64 v[1:2], v[13:14], off offset:3072
	ds_load_2addr_stride64_b64 v[6:9], v28 offset0:26 offset1:28
	ds_load_b64 v[39:40], v33
	ds_load_2addr_stride64_b64 v[10:13], v28 offset0:32 offset1:34
	ds_load_2addr_stride64_b64 v[33:36], v28 offset0:36 offset1:38
	v_add_co_u32 v14, vcc_lo, v3, v27
	s_wait_dscnt 0x8
	s_clause 0x1
	global_store_b64 v[1:2], v[15:16], off offset:4096
	global_store_b64 v[1:2], v[17:18], off offset:5120
	s_wait_dscnt 0x7
	global_store_b64 v[1:2], v[19:20], off offset:6144
	s_wait_dscnt 0x6
	global_store_b64 v[41:42], v[37:38], off
	s_wait_alu 0xfffd
	v_add_co_ci_u32_e32 v15, vcc_lo, 0, v4, vcc_lo
	v_cmp_eq_u32_e32 vcc_lo, 0x7f, v0
	global_store_b64 v[1:2], v[21:22], off offset:8192
	s_wait_dscnt 0x5
	s_clause 0x1
	global_store_b64 v[1:2], v[23:24], off offset:9216
	global_store_b64 v[1:2], v[25:26], off offset:10240
	s_wait_dscnt 0x4
	s_clause 0x1
	global_store_b64 v[1:2], v[29:30], off offset:11264
	;; [unrolled: 4-line block ×3, first 2 shown]
	global_store_b64 v[1:2], v[8:9], off offset:14336
	s_wait_dscnt 0x2
	global_store_b64 v[14:15], v[39:40], off
	s_wait_dscnt 0x1
	s_clause 0x1
	global_store_b64 v[1:2], v[10:11], off offset:16384
	global_store_b64 v[1:2], v[12:13], off offset:17408
	s_wait_dscnt 0x0
	s_clause 0x1
	global_store_b64 v[1:2], v[33:34], off offset:18432
	global_store_b64 v[1:2], v[35:36], off offset:19456
	s_and_b32 exec_lo, exec_lo, vcc_lo
	s_cbranch_execz .LBB0_20
; %bb.19:
	v_mov_b32_e32 v0, 0
	ds_load_b64 v[0:1], v0 offset:20480
	s_wait_dscnt 0x0
	global_store_b64 v[3:4], v[0:1], off offset:20480
.LBB0_20:
	s_nop 0
	s_sendmsg sendmsg(MSG_DEALLOC_VGPRS)
	s_endpgm
	.section	.rodata,"a",@progbits
	.p2align	6, 0x0
	.amdhsa_kernel fft_rtc_fwd_len2560_factors_4_4_4_10_4_wgs_128_tpt_128_halfLds_sp_ip_CI_unitstride_sbrr_R2C_dirReg
		.amdhsa_group_segment_fixed_size 0
		.amdhsa_private_segment_fixed_size 0
		.amdhsa_kernarg_size 88
		.amdhsa_user_sgpr_count 2
		.amdhsa_user_sgpr_dispatch_ptr 0
		.amdhsa_user_sgpr_queue_ptr 0
		.amdhsa_user_sgpr_kernarg_segment_ptr 1
		.amdhsa_user_sgpr_dispatch_id 0
		.amdhsa_user_sgpr_private_segment_size 0
		.amdhsa_wavefront_size32 1
		.amdhsa_uses_dynamic_stack 0
		.amdhsa_enable_private_segment 0
		.amdhsa_system_sgpr_workgroup_id_x 1
		.amdhsa_system_sgpr_workgroup_id_y 0
		.amdhsa_system_sgpr_workgroup_id_z 0
		.amdhsa_system_sgpr_workgroup_info 0
		.amdhsa_system_vgpr_workitem_id 0
		.amdhsa_next_free_vgpr 95
		.amdhsa_next_free_sgpr 32
		.amdhsa_reserve_vcc 1
		.amdhsa_float_round_mode_32 0
		.amdhsa_float_round_mode_16_64 0
		.amdhsa_float_denorm_mode_32 3
		.amdhsa_float_denorm_mode_16_64 3
		.amdhsa_fp16_overflow 0
		.amdhsa_workgroup_processor_mode 1
		.amdhsa_memory_ordered 1
		.amdhsa_forward_progress 0
		.amdhsa_round_robin_scheduling 0
		.amdhsa_exception_fp_ieee_invalid_op 0
		.amdhsa_exception_fp_denorm_src 0
		.amdhsa_exception_fp_ieee_div_zero 0
		.amdhsa_exception_fp_ieee_overflow 0
		.amdhsa_exception_fp_ieee_underflow 0
		.amdhsa_exception_fp_ieee_inexact 0
		.amdhsa_exception_int_div_zero 0
	.end_amdhsa_kernel
	.text
.Lfunc_end0:
	.size	fft_rtc_fwd_len2560_factors_4_4_4_10_4_wgs_128_tpt_128_halfLds_sp_ip_CI_unitstride_sbrr_R2C_dirReg, .Lfunc_end0-fft_rtc_fwd_len2560_factors_4_4_4_10_4_wgs_128_tpt_128_halfLds_sp_ip_CI_unitstride_sbrr_R2C_dirReg
                                        ; -- End function
	.section	.AMDGPU.csdata,"",@progbits
; Kernel info:
; codeLenInByte = 11604
; NumSgprs: 34
; NumVgprs: 95
; ScratchSize: 0
; MemoryBound: 0
; FloatMode: 240
; IeeeMode: 1
; LDSByteSize: 0 bytes/workgroup (compile time only)
; SGPRBlocks: 4
; VGPRBlocks: 11
; NumSGPRsForWavesPerEU: 34
; NumVGPRsForWavesPerEU: 95
; Occupancy: 16
; WaveLimiterHint : 1
; COMPUTE_PGM_RSRC2:SCRATCH_EN: 0
; COMPUTE_PGM_RSRC2:USER_SGPR: 2
; COMPUTE_PGM_RSRC2:TRAP_HANDLER: 0
; COMPUTE_PGM_RSRC2:TGID_X_EN: 1
; COMPUTE_PGM_RSRC2:TGID_Y_EN: 0
; COMPUTE_PGM_RSRC2:TGID_Z_EN: 0
; COMPUTE_PGM_RSRC2:TIDIG_COMP_CNT: 0
	.text
	.p2alignl 7, 3214868480
	.fill 96, 4, 3214868480
	.type	__hip_cuid_344ee78fe2683fd2,@object ; @__hip_cuid_344ee78fe2683fd2
	.section	.bss,"aw",@nobits
	.globl	__hip_cuid_344ee78fe2683fd2
__hip_cuid_344ee78fe2683fd2:
	.byte	0                               ; 0x0
	.size	__hip_cuid_344ee78fe2683fd2, 1

	.ident	"AMD clang version 19.0.0git (https://github.com/RadeonOpenCompute/llvm-project roc-6.4.0 25133 c7fe45cf4b819c5991fe208aaa96edf142730f1d)"
	.section	".note.GNU-stack","",@progbits
	.addrsig
	.addrsig_sym __hip_cuid_344ee78fe2683fd2
	.amdgpu_metadata
---
amdhsa.kernels:
  - .args:
      - .actual_access:  read_only
        .address_space:  global
        .offset:         0
        .size:           8
        .value_kind:     global_buffer
      - .offset:         8
        .size:           8
        .value_kind:     by_value
      - .actual_access:  read_only
        .address_space:  global
        .offset:         16
        .size:           8
        .value_kind:     global_buffer
      - .actual_access:  read_only
        .address_space:  global
        .offset:         24
        .size:           8
        .value_kind:     global_buffer
      - .offset:         32
        .size:           8
        .value_kind:     by_value
      - .actual_access:  read_only
        .address_space:  global
        .offset:         40
        .size:           8
        .value_kind:     global_buffer
      - .actual_access:  read_only
        .address_space:  global
        .offset:         48
        .size:           8
        .value_kind:     global_buffer
      - .offset:         56
        .size:           4
        .value_kind:     by_value
      - .actual_access:  read_only
        .address_space:  global
        .offset:         64
        .size:           8
        .value_kind:     global_buffer
      - .actual_access:  read_only
        .address_space:  global
        .offset:         72
        .size:           8
        .value_kind:     global_buffer
      - .address_space:  global
        .offset:         80
        .size:           8
        .value_kind:     global_buffer
    .group_segment_fixed_size: 0
    .kernarg_segment_align: 8
    .kernarg_segment_size: 88
    .language:       OpenCL C
    .language_version:
      - 2
      - 0
    .max_flat_workgroup_size: 128
    .name:           fft_rtc_fwd_len2560_factors_4_4_4_10_4_wgs_128_tpt_128_halfLds_sp_ip_CI_unitstride_sbrr_R2C_dirReg
    .private_segment_fixed_size: 0
    .sgpr_count:     34
    .sgpr_spill_count: 0
    .symbol:         fft_rtc_fwd_len2560_factors_4_4_4_10_4_wgs_128_tpt_128_halfLds_sp_ip_CI_unitstride_sbrr_R2C_dirReg.kd
    .uniform_work_group_size: 1
    .uses_dynamic_stack: false
    .vgpr_count:     95
    .vgpr_spill_count: 0
    .wavefront_size: 32
    .workgroup_processor_mode: 1
amdhsa.target:   amdgcn-amd-amdhsa--gfx1201
amdhsa.version:
  - 1
  - 2
...

	.end_amdgpu_metadata
